;; amdgpu-corpus repo=ROCm/rocFFT kind=compiled arch=gfx950 opt=O3
	.text
	.amdgcn_target "amdgcn-amd-amdhsa--gfx950"
	.amdhsa_code_object_version 6
	.protected	fft_rtc_fwd_len1785_factors_17_3_5_7_wgs_119_tpt_119_halfLds_dp_op_CI_CI_unitstride_sbrr_dirReg ; -- Begin function fft_rtc_fwd_len1785_factors_17_3_5_7_wgs_119_tpt_119_halfLds_dp_op_CI_CI_unitstride_sbrr_dirReg
	.globl	fft_rtc_fwd_len1785_factors_17_3_5_7_wgs_119_tpt_119_halfLds_dp_op_CI_CI_unitstride_sbrr_dirReg
	.p2align	8
	.type	fft_rtc_fwd_len1785_factors_17_3_5_7_wgs_119_tpt_119_halfLds_dp_op_CI_CI_unitstride_sbrr_dirReg,@function
fft_rtc_fwd_len1785_factors_17_3_5_7_wgs_119_tpt_119_halfLds_dp_op_CI_CI_unitstride_sbrr_dirReg: ; @fft_rtc_fwd_len1785_factors_17_3_5_7_wgs_119_tpt_119_halfLds_dp_op_CI_CI_unitstride_sbrr_dirReg
; %bb.0:
	s_load_dwordx4 s[8:11], s[0:1], 0x58
	s_load_dwordx4 s[4:7], s[0:1], 0x0
	;; [unrolled: 1-line block ×3, first 2 shown]
	v_mul_u32_u24_e32 v1, 0x227, v0
	v_add_u32_sdwa v6, s2, v1 dst_sel:DWORD dst_unused:UNUSED_PAD src0_sel:DWORD src1_sel:WORD_1
	v_mov_b32_e32 v4, 0
	s_waitcnt lgkmcnt(0)
	v_cmp_lt_u64_e64 s[2:3], s[6:7], 2
	v_mov_b32_e32 v7, v4
	s_and_b64 vcc, exec, s[2:3]
	v_mov_b64_e32 v[2:3], 0
	s_cbranch_vccnz .LBB0_8
; %bb.1:
	s_load_dwordx2 s[2:3], s[0:1], 0x10
	s_add_u32 s16, s14, 8
	s_addc_u32 s17, s15, 0
	s_add_u32 s18, s12, 8
	s_addc_u32 s19, s13, 0
	s_waitcnt lgkmcnt(0)
	s_add_u32 s20, s2, 8
	v_mov_b64_e32 v[2:3], 0
	s_addc_u32 s21, s3, 0
	s_mov_b64 s[22:23], 1
	v_mov_b64_e32 v[104:105], v[2:3]
.LBB0_2:                                ; =>This Inner Loop Header: Depth=1
	s_load_dwordx2 s[24:25], s[20:21], 0x0
                                        ; implicit-def: $vgpr108_vgpr109
	s_waitcnt lgkmcnt(0)
	v_or_b32_e32 v5, s25, v7
	v_cmp_ne_u64_e32 vcc, 0, v[4:5]
	s_and_saveexec_b64 s[2:3], vcc
	s_xor_b64 s[26:27], exec, s[2:3]
	s_cbranch_execz .LBB0_4
; %bb.3:                                ;   in Loop: Header=BB0_2 Depth=1
	v_cvt_f32_u32_e32 v1, s24
	v_cvt_f32_u32_e32 v5, s25
	s_sub_u32 s2, 0, s24
	s_subb_u32 s3, 0, s25
	v_fmac_f32_e32 v1, 0x4f800000, v5
	v_rcp_f32_e32 v1, v1
	s_nop 0
	v_mul_f32_e32 v1, 0x5f7ffffc, v1
	v_mul_f32_e32 v5, 0x2f800000, v1
	v_trunc_f32_e32 v5, v5
	v_fmac_f32_e32 v1, 0xcf800000, v5
	v_cvt_u32_f32_e32 v5, v5
	v_cvt_u32_f32_e32 v1, v1
	v_mul_lo_u32 v8, s2, v5
	v_mul_hi_u32 v10, s2, v1
	v_mul_lo_u32 v9, s3, v1
	v_add_u32_e32 v10, v10, v8
	v_mul_lo_u32 v12, s2, v1
	v_add_u32_e32 v13, v10, v9
	v_mul_hi_u32 v8, v1, v12
	v_mul_hi_u32 v11, v1, v13
	v_mul_lo_u32 v10, v1, v13
	v_mov_b32_e32 v9, v4
	v_lshl_add_u64 v[8:9], v[8:9], 0, v[10:11]
	v_mul_hi_u32 v11, v5, v12
	v_mul_lo_u32 v12, v5, v12
	v_add_co_u32_e32 v8, vcc, v8, v12
	v_mul_hi_u32 v10, v5, v13
	s_nop 0
	v_addc_co_u32_e32 v8, vcc, v9, v11, vcc
	v_mov_b32_e32 v9, v4
	s_nop 0
	v_addc_co_u32_e32 v11, vcc, 0, v10, vcc
	v_mul_lo_u32 v10, v5, v13
	v_lshl_add_u64 v[8:9], v[8:9], 0, v[10:11]
	v_add_co_u32_e32 v1, vcc, v1, v8
	v_mul_lo_u32 v10, s2, v1
	s_nop 0
	v_addc_co_u32_e32 v5, vcc, v5, v9, vcc
	v_mul_lo_u32 v8, s2, v5
	v_mul_hi_u32 v9, s2, v1
	v_add_u32_e32 v8, v9, v8
	v_mul_lo_u32 v9, s3, v1
	v_add_u32_e32 v12, v8, v9
	v_mul_hi_u32 v14, v5, v10
	v_mul_lo_u32 v15, v5, v10
	v_mul_hi_u32 v9, v1, v12
	v_mul_lo_u32 v8, v1, v12
	v_mul_hi_u32 v10, v1, v10
	v_mov_b32_e32 v11, v4
	v_lshl_add_u64 v[8:9], v[10:11], 0, v[8:9]
	v_add_co_u32_e32 v8, vcc, v8, v15
	v_mul_hi_u32 v13, v5, v12
	s_nop 0
	v_addc_co_u32_e32 v8, vcc, v9, v14, vcc
	v_mul_lo_u32 v10, v5, v12
	s_nop 0
	v_addc_co_u32_e32 v11, vcc, 0, v13, vcc
	v_mov_b32_e32 v9, v4
	v_lshl_add_u64 v[8:9], v[8:9], 0, v[10:11]
	v_add_co_u32_e32 v1, vcc, v1, v8
	v_mul_hi_u32 v10, v6, v1
	s_nop 0
	v_addc_co_u32_e32 v5, vcc, v5, v9, vcc
	v_mad_u64_u32 v[8:9], s[2:3], v6, v5, 0
	v_mov_b32_e32 v11, v4
	v_lshl_add_u64 v[8:9], v[10:11], 0, v[8:9]
	v_mad_u64_u32 v[12:13], s[2:3], v7, v1, 0
	v_add_co_u32_e32 v1, vcc, v8, v12
	v_mad_u64_u32 v[10:11], s[2:3], v7, v5, 0
	s_nop 0
	v_addc_co_u32_e32 v8, vcc, v9, v13, vcc
	v_mov_b32_e32 v9, v4
	s_nop 0
	v_addc_co_u32_e32 v11, vcc, 0, v11, vcc
	v_lshl_add_u64 v[8:9], v[8:9], 0, v[10:11]
	v_mul_lo_u32 v1, s25, v8
	v_mul_lo_u32 v5, s24, v9
	v_mad_u64_u32 v[10:11], s[2:3], s24, v8, 0
	v_add3_u32 v1, v11, v5, v1
	v_sub_u32_e32 v5, v7, v1
	v_mov_b32_e32 v11, s25
	v_sub_co_u32_e32 v14, vcc, v6, v10
	v_lshl_add_u64 v[12:13], v[8:9], 0, 1
	s_nop 0
	v_subb_co_u32_e64 v5, s[2:3], v5, v11, vcc
	v_subrev_co_u32_e64 v10, s[2:3], s24, v14
	v_subb_co_u32_e32 v1, vcc, v7, v1, vcc
	s_nop 0
	v_subbrev_co_u32_e64 v5, s[2:3], 0, v5, s[2:3]
	v_cmp_le_u32_e64 s[2:3], s25, v5
	v_cmp_le_u32_e32 vcc, s25, v1
	s_nop 0
	v_cndmask_b32_e64 v11, 0, -1, s[2:3]
	v_cmp_le_u32_e64 s[2:3], s24, v10
	s_nop 1
	v_cndmask_b32_e64 v10, 0, -1, s[2:3]
	v_cmp_eq_u32_e64 s[2:3], s25, v5
	s_nop 1
	v_cndmask_b32_e64 v5, v11, v10, s[2:3]
	v_lshl_add_u64 v[10:11], v[8:9], 0, 2
	v_cmp_ne_u32_e64 s[2:3], 0, v5
	s_nop 1
	v_cndmask_b32_e64 v5, v13, v11, s[2:3]
	v_cndmask_b32_e64 v11, 0, -1, vcc
	v_cmp_le_u32_e32 vcc, s24, v14
	s_nop 1
	v_cndmask_b32_e64 v13, 0, -1, vcc
	v_cmp_eq_u32_e32 vcc, s25, v1
	s_nop 1
	v_cndmask_b32_e32 v1, v11, v13, vcc
	v_cmp_ne_u32_e32 vcc, 0, v1
	v_cndmask_b32_e64 v1, v12, v10, s[2:3]
	s_nop 0
	v_cndmask_b32_e32 v109, v9, v5, vcc
	v_cndmask_b32_e32 v108, v8, v1, vcc
.LBB0_4:                                ;   in Loop: Header=BB0_2 Depth=1
	s_andn2_saveexec_b64 s[2:3], s[26:27]
	s_cbranch_execz .LBB0_6
; %bb.5:                                ;   in Loop: Header=BB0_2 Depth=1
	v_cvt_f32_u32_e32 v1, s24
	s_sub_i32 s26, 0, s24
	v_mov_b32_e32 v109, v4
	v_rcp_iflag_f32_e32 v1, v1
	s_nop 0
	v_mul_f32_e32 v1, 0x4f7ffffe, v1
	v_cvt_u32_f32_e32 v1, v1
	v_mul_lo_u32 v5, s26, v1
	v_mul_hi_u32 v5, v1, v5
	v_add_u32_e32 v1, v1, v5
	v_mul_hi_u32 v1, v6, v1
	v_mul_lo_u32 v5, v1, s24
	v_sub_u32_e32 v5, v6, v5
	v_add_u32_e32 v8, 1, v1
	v_subrev_u32_e32 v9, s24, v5
	v_cmp_le_u32_e32 vcc, s24, v5
	s_nop 1
	v_cndmask_b32_e32 v5, v5, v9, vcc
	v_cndmask_b32_e32 v1, v1, v8, vcc
	v_add_u32_e32 v8, 1, v1
	v_cmp_le_u32_e32 vcc, s24, v5
	s_nop 1
	v_cndmask_b32_e32 v108, v1, v8, vcc
.LBB0_6:                                ;   in Loop: Header=BB0_2 Depth=1
	s_or_b64 exec, exec, s[2:3]
	v_mad_u64_u32 v[8:9], s[2:3], v108, s24, 0
	s_load_dwordx2 s[2:3], s[18:19], 0x0
	v_mul_lo_u32 v1, v109, s24
	v_mul_lo_u32 v5, v108, s25
	s_load_dwordx2 s[24:25], s[16:17], 0x0
	s_add_u32 s22, s22, 1
	v_add3_u32 v1, v9, v5, v1
	v_sub_co_u32_e32 v5, vcc, v6, v8
	s_addc_u32 s23, s23, 0
	s_nop 0
	v_subb_co_u32_e32 v1, vcc, v7, v1, vcc
	s_add_u32 s16, s16, 8
	s_waitcnt lgkmcnt(0)
	v_mul_lo_u32 v6, s2, v1
	v_mul_lo_u32 v7, s3, v5
	v_mad_u64_u32 v[2:3], s[2:3], s2, v5, v[2:3]
	s_addc_u32 s17, s17, 0
	v_add3_u32 v3, v7, v3, v6
	v_mul_lo_u32 v1, s24, v1
	v_mul_lo_u32 v6, s25, v5
	v_mad_u64_u32 v[104:105], s[2:3], s24, v5, v[104:105]
	s_add_u32 s18, s18, 8
	v_add3_u32 v105, v6, v105, v1
	s_addc_u32 s19, s19, 0
	v_mov_b64_e32 v[6:7], s[6:7]
	s_add_u32 s20, s20, 8
	v_cmp_ge_u64_e32 vcc, s[22:23], v[6:7]
	s_addc_u32 s21, s21, 0
	s_cbranch_vccnz .LBB0_9
; %bb.7:                                ;   in Loop: Header=BB0_2 Depth=1
	v_mov_b64_e32 v[6:7], v[108:109]
	s_branch .LBB0_2
.LBB0_8:
	v_mov_b64_e32 v[104:105], v[2:3]
	v_mov_b64_e32 v[108:109], v[6:7]
.LBB0_9:
	s_load_dwordx2 s[0:1], s[0:1], 0x28
	s_mov_b32 s16, 0x226b903
	v_mul_hi_u32 v1, v0, s16
	v_mul_u32_u24_e32 v1, 0x77, v1
	s_lshl_b64 s[2:3], s[6:7], 3
	s_waitcnt lgkmcnt(0)
	v_cmp_gt_u64_e32 vcc, s[0:1], v[108:109]
	v_sub_u32_e32 v106, v0, v1
	s_movk_i32 s0, 0x69
	s_add_u32 s6, s14, s2
	v_cmp_gt_u32_e64 s[0:1], s0, v106
	s_addc_u32 s7, s15, s3
	s_and_b64 s[16:17], vcc, s[0:1]
                                        ; implicit-def: $vgpr72_vgpr73
                                        ; implicit-def: $vgpr60_vgpr61
                                        ; implicit-def: $vgpr56_vgpr57
                                        ; implicit-def: $vgpr64_vgpr65
                                        ; implicit-def: $vgpr68_vgpr69
                                        ; implicit-def: $vgpr52_vgpr53
                                        ; implicit-def: $vgpr48_vgpr49
                                        ; implicit-def: $vgpr44_vgpr45
                                        ; implicit-def: $vgpr40_vgpr41
                                        ; implicit-def: $vgpr36_vgpr37
                                        ; implicit-def: $vgpr32_vgpr33
                                        ; implicit-def: $vgpr28_vgpr29
                                        ; implicit-def: $vgpr24_vgpr25
                                        ; implicit-def: $vgpr20_vgpr21
                                        ; implicit-def: $vgpr16_vgpr17
                                        ; implicit-def: $vgpr12_vgpr13
                                        ; implicit-def: $vgpr8_vgpr9
	s_and_saveexec_b64 s[14:15], s[16:17]
	s_cbranch_execz .LBB0_11
; %bb.10:
	s_add_u32 s2, s12, s2
	s_addc_u32 s3, s13, s3
	s_load_dwordx2 s[2:3], s[2:3], 0x0
	v_mov_b32_e32 v107, 0
	s_waitcnt lgkmcnt(0)
	v_mul_lo_u32 v4, s3, v108
	v_mul_lo_u32 v5, s2, v109
	v_mad_u64_u32 v[0:1], s[2:3], s2, v108, 0
	v_add3_u32 v1, v1, v5, v4
	v_lshl_add_u64 v[0:1], v[0:1], 4, s[8:9]
	v_lshl_add_u64 v[0:1], v[2:3], 4, v[0:1]
	;; [unrolled: 1-line block ×3, first 2 shown]
	s_movk_i32 s2, 0x1000
	v_add_co_u32_e64 v2, s[2:3], s2, v0
	global_load_dwordx4 v[6:9], v[0:1], off
	global_load_dwordx4 v[10:13], v[0:1], off offset:1680
	v_addc_co_u32_e64 v3, s[2:3], 0, v1, s[2:3]
	s_movk_i32 s2, 0x2000
	s_nop 0
	v_add_co_u32_e64 v4, s[2:3], s2, v0
	global_load_dwordx4 v[14:17], v[0:1], off offset:3360
	global_load_dwordx4 v[18:21], v[2:3], off offset:944
	v_addc_co_u32_e64 v5, s[2:3], 0, v1, s[2:3]
	s_movk_i32 s2, 0x3000
	global_load_dwordx4 v[22:25], v[2:3], off offset:2624
	global_load_dwordx4 v[26:29], v[4:5], off offset:208
	;; [unrolled: 1-line block ×4, first 2 shown]
	v_add_co_u32_e64 v2, s[2:3], s2, v0
	s_nop 1
	v_addc_co_u32_e64 v3, s[2:3], 0, v1, s[2:3]
	s_movk_i32 s2, 0x4000
	global_load_dwordx4 v[38:41], v[2:3], off offset:1152
	global_load_dwordx4 v[42:45], v[2:3], off offset:2832
	v_add_co_u32_e64 v2, s[2:3], s2, v0
	s_nop 1
	v_addc_co_u32_e64 v3, s[2:3], 0, v1, s[2:3]
	s_movk_i32 s2, 0x5000
	s_nop 0
	v_add_co_u32_e64 v4, s[2:3], s2, v0
	global_load_dwordx4 v[46:49], v[2:3], off offset:416
	global_load_dwordx4 v[50:53], v[2:3], off offset:2096
	v_addc_co_u32_e64 v5, s[2:3], 0, v1, s[2:3]
	s_movk_i32 s2, 0x6000
	s_nop 0
	v_add_co_u32_e64 v0, s[2:3], s2, v0
	s_nop 1
	v_addc_co_u32_e64 v1, s[2:3], 0, v1, s[2:3]
	global_load_dwordx4 v[66:69], v[2:3], off offset:3776
	global_load_dwordx4 v[62:65], v[4:5], off offset:1360
	;; [unrolled: 1-line block ×5, first 2 shown]
.LBB0_11:
	s_or_b64 exec, exec, s[14:15]
	s_mov_b32 s2, 0x370991
	s_waitcnt vmcnt(0)
	v_add_f64 v[84:85], v[70:71], v[10:11]
	s_mov_b32 s3, 0x3fedd6d0
	s_mov_b32 s22, 0x5d8e7cdc
	;; [unrolled: 1-line block ×3, first 2 shown]
	v_add_f64 v[78:79], v[12:13], -v[72:73]
	v_mul_f64 v[4:5], v[84:85], s[2:3]
	s_mov_b32 s23, 0xbfd71e95
	s_mov_b32 s9, 0x3fe7a5f6
	;; [unrolled: 1-line block ×3, first 2 shown]
	v_add_f64 v[92:93], v[58:59], v[14:15]
	v_fma_f64 v[0:1], s[22:23], v[78:79], v[4:5]
	s_mov_b32 s27, 0xbfe58eea
	v_add_f64 v[86:87], v[16:17], -v[60:61]
	v_mul_f64 v[74:75], v[92:93], s[8:9]
	s_mov_b32 s12, 0x3259b75e
	v_add_f64 v[0:1], v[6:7], v[0:1]
	v_fma_f64 v[2:3], s[26:27], v[86:87], v[74:75]
	v_mul_f64 v[76:77], v[84:85], s[8:9]
	s_mov_b32 s13, 0x3fb79ee6
	s_mov_b32 s28, 0xeb564b22
	v_add_f64 v[0:1], v[2:3], v[0:1]
	v_fma_f64 v[2:3], s[26:27], v[78:79], v[76:77]
	s_mov_b32 s29, 0xbfefdd0d
	v_mul_f64 v[80:81], v[92:93], s[12:13]
	s_mov_b32 s14, 0x2b2883cd
	v_add_f64 v[2:3], v[6:7], v[2:3]
	v_fma_f64 v[82:83], s[28:29], v[86:87], v[80:81]
	s_mov_b32 s15, 0x3fdc86fa
	s_mov_b32 s36, 0x7c9e640b
	v_add_f64 v[102:103], v[54:55], v[18:19]
	s_mov_b32 s16, 0x6ed5f1bb
	v_add_f64 v[2:3], v[82:83], v[2:3]
	s_mov_b32 s37, 0xbfeca52d
	v_add_f64 v[94:95], v[20:21], -v[56:57]
	v_mul_f64 v[82:83], v[102:103], s[14:15]
	s_mov_b32 s17, 0xbfe348c8
	s_mov_b32 s30, 0x6c9a05f6
	v_fma_f64 v[88:89], s[36:37], v[94:95], v[82:83]
	s_mov_b32 s31, 0xbfe9895b
	v_mul_f64 v[90:91], v[102:103], s[16:17]
	v_add_f64 v[0:1], v[88:89], v[0:1]
	v_fma_f64 v[88:89], s[30:31], v[94:95], v[90:91]
	v_add_f64 v[114:115], v[62:63], v[22:23]
	v_add_f64 v[2:3], v[88:89], v[2:3]
	v_add_f64 v[96:97], v[24:25], -v[64:65]
	v_mul_f64 v[88:89], v[114:115], s[12:13]
	s_mov_b32 s18, 0x7faef3
	v_fma_f64 v[98:99], s[28:29], v[96:97], v[88:89]
	s_mov_b32 s19, 0xbfef7484
	s_mov_b32 s34, 0xacd6c6b4
	v_add_f64 v[0:1], v[98:99], v[0:1]
	s_mov_b32 s35, 0xbfc7851a
	v_mul_f64 v[98:99], v[114:115], s[18:19]
	s_mov_b32 s20, 0xc61f0d01
	v_fma_f64 v[100:101], s[34:35], v[96:97], v[98:99]
	s_mov_b32 s21, 0xbfd183b1
	s_mov_b32 s38, 0x923c349f
	v_add_f64 v[126:127], v[66:67], v[26:27]
	s_mov_b32 s24, 0x910ea3b9
	v_add_f64 v[2:3], v[100:101], v[2:3]
	s_mov_b32 s39, 0xbfeec746
	v_add_f64 v[110:111], v[28:29], -v[68:69]
	v_mul_f64 v[100:101], v[126:127], s[20:21]
	s_mov_b32 s25, 0xbfeb34fa
	s_mov_b32 s40, 0x4363dd80
	v_fma_f64 v[112:113], s[38:39], v[110:111], v[100:101]
	s_mov_b32 s41, 0x3fe0d888
	v_mul_f64 v[116:117], v[126:127], s[24:25]
	v_add_f64 v[0:1], v[112:113], v[0:1]
	v_fma_f64 v[112:113], s[40:41], v[110:111], v[116:117]
	v_add_f64 v[136:137], v[50:51], v[30:31]
	v_add_f64 v[2:3], v[112:113], v[2:3]
	v_add_f64 v[118:119], v[32:33], -v[52:53]
	v_mul_f64 v[112:113], v[136:137], s[16:17]
	v_fma_f64 v[120:121], s[30:31], v[118:119], v[112:113]
	s_mov_b32 s43, 0x3feec746
	s_mov_b32 s42, s38
	v_mul_f64 v[122:123], v[136:137], s[20:21]
	v_add_f64 v[0:1], v[120:121], v[0:1]
	v_fma_f64 v[120:121], s[42:43], v[118:119], v[122:123]
	v_add_f64 v[142:143], v[46:47], v[34:35]
	v_add_f64 v[2:3], v[120:121], v[2:3]
	s_mov_b32 s45, 0xbfe0d888
	s_mov_b32 s44, s40
	v_add_f64 v[124:125], v[36:37], -v[48:49]
	v_mul_f64 v[120:121], v[142:143], s[24:25]
	v_fma_f64 v[128:129], s[44:45], v[124:125], v[120:121]
	s_mov_b32 s47, 0x3feca52d
	s_mov_b32 s46, s36
	v_mul_f64 v[132:133], v[142:143], s[14:15]
	v_add_f64 v[146:147], v[42:43], v[38:39]
	v_add_f64 v[130:131], v[128:129], v[0:1]
	v_fma_f64 v[0:1], s[46:47], v[124:125], v[132:133]
	s_mov_b32 s49, 0x3fd71e95
	s_mov_b32 s48, s22
	v_add_f64 v[134:135], v[40:41], -v[44:45]
	v_mul_f64 v[138:139], v[146:147], s[2:3]
	v_add_f64 v[0:1], v[0:1], v[2:3]
	v_fma_f64 v[2:3], s[48:49], v[134:135], v[138:139]
	v_mul_f64 v[128:129], v[146:147], s[18:19]
	v_add_f64 v[0:1], v[2:3], v[0:1]
	v_fma_f64 v[2:3], s[34:35], v[134:135], v[128:129]
	v_add_f64 v[2:3], v[2:3], v[130:131]
	s_and_saveexec_b64 s[50:51], s[0:1]
	s_cbranch_execz .LBB0_13
; %bb.12:
	v_mul_f64 v[154:155], v[78:79], s[34:35]
	v_mul_f64 v[152:153], v[86:87], s[48:49]
	v_fma_f64 v[156:157], s[18:19], v[84:85], v[154:155]
	s_mov_b32 s53, 0x3fe58eea
	s_mov_b32 s52, s26
	v_mul_f64 v[150:151], v[94:95], s[44:45]
	v_fma_f64 v[130:131], s[2:3], v[92:93], v[152:153]
	v_add_f64 v[156:157], v[6:7], v[156:157]
	v_mul_f64 v[148:149], v[96:97], s[52:53]
	v_add_f64 v[130:131], v[130:131], v[156:157]
	v_fma_f64 v[156:157], s[24:25], v[102:103], v[150:151]
	v_fma_f64 v[154:155], v[84:85], s[18:19], -v[154:155]
	v_mul_f64 v[144:145], v[110:111], s[30:31]
	v_add_f64 v[130:131], v[156:157], v[130:131]
	v_fma_f64 v[156:157], s[8:9], v[114:115], v[148:149]
	v_fma_f64 v[152:153], v[92:93], s[2:3], -v[152:153]
	v_add_f64 v[154:155], v[6:7], v[154:155]
	v_mul_f64 v[140:141], v[118:119], s[46:47]
	v_add_f64 v[130:131], v[156:157], v[130:131]
	v_fma_f64 v[156:157], s[16:17], v[126:127], v[144:145]
	v_add_f64 v[152:153], v[152:153], v[154:155]
	v_fma_f64 v[150:151], v[102:103], s[24:25], -v[150:151]
	v_add_f64 v[130:131], v[156:157], v[130:131]
	v_fma_f64 v[156:157], s[14:15], v[136:137], v[140:141]
	v_fma_f64 v[148:149], v[114:115], s[8:9], -v[148:149]
	v_add_f64 v[150:151], v[150:151], v[152:153]
	v_add_f64 v[130:131], v[156:157], v[130:131]
	v_mul_f64 v[156:157], v[124:125], s[38:39]
	v_fma_f64 v[144:145], v[126:127], s[16:17], -v[144:145]
	v_add_f64 v[148:149], v[148:149], v[150:151]
	v_fma_f64 v[158:159], s[20:21], v[142:143], v[156:157]
	s_mov_b32 s57, 0x3fefdd0d
	s_mov_b32 s56, s28
	v_fma_f64 v[140:141], v[136:137], s[14:15], -v[140:141]
	v_add_f64 v[144:145], v[144:145], v[148:149]
	v_add_f64 v[130:131], v[158:159], v[130:131]
	v_mul_f64 v[158:159], v[134:135], s[56:57]
	v_fma_f64 v[156:157], v[142:143], s[20:21], -v[156:157]
	v_add_f64 v[140:141], v[140:141], v[144:145]
	v_fma_f64 v[154:155], v[146:147], s[12:13], -v[158:159]
	v_add_f64 v[140:141], v[156:157], v[140:141]
	v_add_f64 v[140:141], v[154:155], v[140:141]
	v_mul_f64 v[154:155], v[78:79], s[44:45]
	v_mul_f64 v[152:153], v[86:87], s[46:47]
	v_fma_f64 v[156:157], s[24:25], v[84:85], v[154:155]
	s_mov_b32 s55, 0x3fe9895b
	s_mov_b32 s54, s30
	v_mul_f64 v[150:151], v[94:95], s[28:29]
	v_fma_f64 v[144:145], s[14:15], v[92:93], v[152:153]
	v_add_f64 v[156:157], v[6:7], v[156:157]
	v_mul_f64 v[148:149], v[96:97], s[54:55]
	v_add_f64 v[144:145], v[144:145], v[156:157]
	v_fma_f64 v[156:157], s[12:13], v[102:103], v[150:151]
	v_add_f64 v[144:145], v[156:157], v[144:145]
	v_fma_f64 v[156:157], s[16:17], v[114:115], v[148:149]
	v_add_f64 v[144:145], v[156:157], v[144:145]
	v_mul_f64 v[156:157], v[110:111], s[22:23]
	v_fma_f64 v[154:155], v[84:85], s[24:25], -v[154:155]
	v_fma_f64 v[160:161], s[12:13], v[146:147], v[158:159]
	v_fma_f64 v[158:159], s[2:3], v[126:127], v[156:157]
	v_fma_f64 v[152:153], v[92:93], s[14:15], -v[152:153]
	v_add_f64 v[154:155], v[6:7], v[154:155]
	v_add_f64 v[144:145], v[158:159], v[144:145]
	v_mul_f64 v[158:159], v[118:119], s[34:35]
	v_add_f64 v[152:153], v[152:153], v[154:155]
	v_fma_f64 v[150:151], v[102:103], s[12:13], -v[150:151]
	v_add_f64 v[130:131], v[160:161], v[130:131]
	v_fma_f64 v[160:161], s[18:19], v[136:137], v[158:159]
	v_add_f64 v[150:151], v[150:151], v[152:153]
	v_fma_f64 v[148:149], v[114:115], s[16:17], -v[148:149]
	v_add_f64 v[144:145], v[160:161], v[144:145]
	v_mul_f64 v[160:161], v[124:125], s[52:53]
	v_add_f64 v[148:149], v[148:149], v[150:151]
	v_fma_f64 v[156:157], v[126:127], s[2:3], -v[156:157]
	v_fma_f64 v[162:163], s[8:9], v[142:143], v[160:161]
	v_fma_f64 v[154:155], v[136:137], s[18:19], -v[158:159]
	v_add_f64 v[148:149], v[156:157], v[148:149]
	v_add_f64 v[144:145], v[162:163], v[144:145]
	v_mul_f64 v[162:163], v[134:135], s[38:39]
	v_fma_f64 v[152:153], v[142:143], s[8:9], -v[160:161]
	v_add_f64 v[148:149], v[154:155], v[148:149]
	v_mul_f64 v[154:155], v[78:79], s[30:31]
	v_fma_f64 v[150:151], v[146:147], s[20:21], -v[162:163]
	v_add_f64 v[148:149], v[152:153], v[148:149]
	v_mul_f64 v[152:153], v[86:87], s[42:43]
	v_fma_f64 v[156:157], s[16:17], v[84:85], v[154:155]
	v_add_f64 v[148:149], v[150:151], v[148:149]
	v_fma_f64 v[150:151], s[20:21], v[92:93], v[152:153]
	v_add_f64 v[156:157], v[6:7], v[156:157]
	v_add_f64 v[150:151], v[150:151], v[156:157]
	v_mul_f64 v[156:157], v[94:95], s[22:23]
	v_fma_f64 v[158:159], s[2:3], v[102:103], v[156:157]
	v_add_f64 v[150:151], v[158:159], v[150:151]
	v_mul_f64 v[158:159], v[96:97], s[44:45]
	v_fma_f64 v[160:161], s[24:25], v[114:115], v[158:159]
	v_add_f64 v[150:151], v[160:161], v[150:151]
	v_mul_f64 v[160:161], v[110:111], s[56:57]
	v_fma_f64 v[154:155], v[84:85], s[16:17], -v[154:155]
	v_fma_f64 v[164:165], s[20:21], v[146:147], v[162:163]
	v_fma_f64 v[162:163], s[12:13], v[126:127], v[160:161]
	v_fma_f64 v[152:153], v[92:93], s[20:21], -v[152:153]
	v_add_f64 v[154:155], v[6:7], v[154:155]
	v_add_f64 v[150:151], v[162:163], v[150:151]
	v_mul_f64 v[162:163], v[118:119], s[26:27]
	v_add_f64 v[152:153], v[152:153], v[154:155]
	v_fma_f64 v[154:155], v[102:103], s[2:3], -v[156:157]
	v_add_f64 v[144:145], v[164:165], v[144:145]
	v_fma_f64 v[164:165], s[8:9], v[136:137], v[162:163]
	v_add_f64 v[152:153], v[154:155], v[152:153]
	v_fma_f64 v[154:155], v[114:115], s[24:25], -v[158:159]
	v_add_f64 v[150:151], v[164:165], v[150:151]
	v_mul_f64 v[164:165], v[124:125], s[34:35]
	v_add_f64 v[152:153], v[154:155], v[152:153]
	v_fma_f64 v[154:155], v[126:127], s[12:13], -v[160:161]
	v_fma_f64 v[166:167], s[18:19], v[142:143], v[164:165]
	v_add_f64 v[152:153], v[154:155], v[152:153]
	v_fma_f64 v[154:155], v[136:137], s[8:9], -v[162:163]
	v_add_f64 v[150:151], v[166:167], v[150:151]
	v_mul_f64 v[166:167], v[134:135], s[46:47]
	v_add_f64 v[152:153], v[154:155], v[152:153]
	v_fma_f64 v[156:157], v[142:143], s[18:19], -v[164:165]
	v_fma_f64 v[154:155], v[146:147], s[14:15], -v[166:167]
	v_add_f64 v[152:153], v[156:157], v[152:153]
	v_mul_f64 v[156:157], v[78:79], s[38:39]
	v_add_f64 v[152:153], v[154:155], v[152:153]
	v_fma_f64 v[154:155], s[20:21], v[84:85], v[156:157]
	v_mul_f64 v[158:159], v[86:87], s[40:41]
	v_add_f64 v[154:155], v[6:7], v[154:155]
	v_fma_f64 v[160:161], s[24:25], v[92:93], v[158:159]
	v_add_f64 v[154:155], v[160:161], v[154:155]
	v_mul_f64 v[160:161], v[94:95], s[52:53]
	v_fma_f64 v[162:163], s[8:9], v[102:103], v[160:161]
	v_add_f64 v[154:155], v[162:163], v[154:155]
	v_mul_f64 v[162:163], v[96:97], s[36:37]
	;; [unrolled: 3-line block ×3, first 2 shown]
	v_fma_f64 v[156:157], v[84:85], s[20:21], -v[156:157]
	v_fma_f64 v[168:169], s[14:15], v[146:147], v[166:167]
	v_fma_f64 v[166:167], s[18:19], v[126:127], v[164:165]
	v_fma_f64 v[158:159], v[92:93], s[24:25], -v[158:159]
	v_add_f64 v[156:157], v[6:7], v[156:157]
	v_add_f64 v[154:155], v[166:167], v[154:155]
	v_mul_f64 v[166:167], v[118:119], s[56:57]
	v_add_f64 v[156:157], v[158:159], v[156:157]
	v_fma_f64 v[158:159], v[102:103], s[8:9], -v[160:161]
	v_add_f64 v[150:151], v[168:169], v[150:151]
	v_fma_f64 v[168:169], s[12:13], v[136:137], v[166:167]
	v_add_f64 v[156:157], v[158:159], v[156:157]
	v_fma_f64 v[158:159], v[114:115], s[14:15], -v[162:163]
	v_add_f64 v[154:155], v[168:169], v[154:155]
	v_mul_f64 v[168:169], v[124:125], s[22:23]
	v_add_f64 v[156:157], v[158:159], v[156:157]
	v_fma_f64 v[158:159], v[126:127], s[18:19], -v[164:165]
	v_fma_f64 v[170:171], s[2:3], v[142:143], v[168:169]
	v_add_f64 v[156:157], v[158:159], v[156:157]
	v_fma_f64 v[158:159], v[136:137], s[12:13], -v[166:167]
	v_add_f64 v[154:155], v[170:171], v[154:155]
	v_mul_f64 v[170:171], v[134:135], s[30:31]
	v_add_f64 v[156:157], v[158:159], v[156:157]
	v_fma_f64 v[158:159], v[142:143], s[2:3], -v[168:169]
	v_add_f64 v[156:157], v[158:159], v[156:157]
	v_fma_f64 v[158:159], v[146:147], s[16:17], -v[170:171]
	v_add_f64 v[156:157], v[158:159], v[156:157]
	v_mul_f64 v[158:159], v[78:79], s[28:29]
	v_fma_f64 v[160:161], s[12:13], v[84:85], v[158:159]
	v_mul_f64 v[162:163], v[86:87], s[34:35]
	v_add_f64 v[160:161], v[6:7], v[160:161]
	v_fma_f64 v[164:165], s[18:19], v[92:93], v[162:163]
	v_add_f64 v[160:161], v[164:165], v[160:161]
	v_mul_f64 v[164:165], v[94:95], s[42:43]
	v_fma_f64 v[166:167], s[20:21], v[102:103], v[164:165]
	v_add_f64 v[160:161], v[166:167], v[160:161]
	v_mul_f64 v[166:167], v[96:97], s[48:49]
	;; [unrolled: 3-line block ×3, first 2 shown]
	v_fma_f64 v[158:159], v[84:85], s[12:13], -v[158:159]
	v_fma_f64 v[172:173], s[16:17], v[146:147], v[170:171]
	v_fma_f64 v[170:171], s[14:15], v[126:127], v[168:169]
	v_fma_f64 v[162:163], v[92:93], s[18:19], -v[162:163]
	v_add_f64 v[158:159], v[6:7], v[158:159]
	v_add_f64 v[160:161], v[170:171], v[160:161]
	v_mul_f64 v[170:171], v[118:119], s[44:45]
	v_add_f64 v[158:159], v[162:163], v[158:159]
	v_fma_f64 v[162:163], v[102:103], s[20:21], -v[164:165]
	v_add_f64 v[154:155], v[172:173], v[154:155]
	v_fma_f64 v[172:173], s[24:25], v[136:137], v[170:171]
	v_add_f64 v[158:159], v[162:163], v[158:159]
	v_fma_f64 v[162:163], v[114:115], s[2:3], -v[166:167]
	v_add_f64 v[160:161], v[172:173], v[160:161]
	v_mul_f64 v[172:173], v[124:125], s[54:55]
	v_add_f64 v[158:159], v[162:163], v[158:159]
	v_fma_f64 v[162:163], v[126:127], s[14:15], -v[168:169]
	v_fma_f64 v[174:175], s[16:17], v[142:143], v[172:173]
	v_add_f64 v[158:159], v[162:163], v[158:159]
	v_fma_f64 v[162:163], v[136:137], s[24:25], -v[170:171]
	v_add_f64 v[160:161], v[174:175], v[160:161]
	v_mul_f64 v[174:175], v[134:135], s[52:53]
	v_add_f64 v[158:159], v[162:163], v[158:159]
	v_fma_f64 v[162:163], v[142:143], s[16:17], -v[172:173]
	v_add_f64 v[158:159], v[162:163], v[158:159]
	v_fma_f64 v[162:163], v[146:147], s[8:9], -v[174:175]
	v_add_f64 v[158:159], v[162:163], v[158:159]
	v_mul_f64 v[162:163], v[78:79], s[36:37]
	v_fma_f64 v[164:165], s[14:15], v[84:85], v[162:163]
	v_mul_f64 v[166:167], v[86:87], s[30:31]
	v_fma_f64 v[84:85], v[84:85], s[14:15], -v[162:163]
	v_add_f64 v[164:165], v[6:7], v[164:165]
	v_fma_f64 v[168:169], s[16:17], v[92:93], v[166:167]
	s_mov_b32 s55, 0x3fc7851a
	s_mov_b32 s54, s34
	v_fma_f64 v[92:93], v[92:93], s[16:17], -v[166:167]
	v_add_f64 v[84:85], v[6:7], v[84:85]
	v_add_f64 v[164:165], v[168:169], v[164:165]
	v_mul_f64 v[168:169], v[94:95], s[54:55]
	v_add_f64 v[84:85], v[92:93], v[84:85]
	v_mul_f64 v[92:93], v[78:79], s[22:23]
	v_mul_f64 v[78:79], v[78:79], s[26:27]
	v_fma_f64 v[170:171], s[18:19], v[102:103], v[168:169]
	v_add_f64 v[76:77], v[76:77], -v[78:79]
	v_add_f64 v[4:5], v[4:5], -v[92:93]
	v_add_f64 v[164:165], v[170:171], v[164:165]
	v_mul_f64 v[170:171], v[96:97], s[42:43]
	v_add_f64 v[76:77], v[6:7], v[76:77]
	v_add_f64 v[4:5], v[6:7], v[4:5]
	;; [unrolled: 1-line block ×3, first 2 shown]
	v_fma_f64 v[172:173], s[20:21], v[114:115], v[170:171]
	v_add_f64 v[6:7], v[14:15], v[6:7]
	v_add_f64 v[164:165], v[172:173], v[164:165]
	v_mul_f64 v[172:173], v[110:111], s[52:53]
	v_fma_f64 v[102:103], v[102:103], s[18:19], -v[168:169]
	v_add_f64 v[6:7], v[18:19], v[6:7]
	v_fma_f64 v[176:177], s[8:9], v[146:147], v[174:175]
	v_fma_f64 v[174:175], s[8:9], v[126:127], v[172:173]
	v_fma_f64 v[114:115], v[114:115], s[20:21], -v[170:171]
	v_add_f64 v[84:85], v[102:103], v[84:85]
	v_add_f64 v[6:7], v[22:23], v[6:7]
	;; [unrolled: 1-line block ×3, first 2 shown]
	v_mul_f64 v[174:175], v[118:119], s[22:23]
	v_fma_f64 v[126:127], v[126:127], s[8:9], -v[172:173]
	v_add_f64 v[84:85], v[114:115], v[84:85]
	v_add_f64 v[6:7], v[26:27], v[6:7]
	;; [unrolled: 1-line block ×3, first 2 shown]
	v_fma_f64 v[176:177], s[2:3], v[136:137], v[174:175]
	v_fma_f64 v[136:137], v[136:137], s[2:3], -v[174:175]
	v_add_f64 v[84:85], v[126:127], v[84:85]
	v_add_f64 v[6:7], v[30:31], v[6:7]
	;; [unrolled: 1-line block ×3, first 2 shown]
	v_mul_f64 v[136:137], v[124:125], s[46:47]
	v_add_f64 v[6:7], v[34:35], v[6:7]
	v_mul_f64 v[102:103], v[86:87], s[26:27]
	v_add_f64 v[132:133], v[132:133], -v[136:137]
	v_mul_f64 v[136:137], v[118:119], s[42:43]
	v_add_f64 v[6:7], v[38:39], v[6:7]
	v_mul_f64 v[86:87], v[86:87], s[28:29]
	v_mul_f64 v[114:115], v[94:95], s[36:37]
	v_add_f64 v[122:123], v[122:123], -v[136:137]
	v_mul_f64 v[136:137], v[110:111], s[40:41]
	v_add_f64 v[74:75], v[74:75], -v[102:103]
	v_add_f64 v[6:7], v[42:43], v[6:7]
	v_mul_f64 v[94:95], v[94:95], s[30:31]
	v_add_f64 v[116:117], v[116:117], -v[136:137]
	v_mul_f64 v[136:137], v[96:97], s[28:29]
	v_add_f64 v[80:81], v[80:81], -v[86:87]
	v_add_f64 v[82:83], v[82:83], -v[114:115]
	v_add_f64 v[4:5], v[74:75], v[4:5]
	v_add_f64 v[6:7], v[46:47], v[6:7]
	v_mul_f64 v[96:97], v[96:97], s[34:35]
	v_mul_f64 v[110:111], v[110:111], s[38:39]
	v_add_f64 v[90:91], v[90:91], -v[94:95]
	v_add_f64 v[76:77], v[80:81], v[76:77]
	v_add_f64 v[88:89], v[88:89], -v[136:137]
	v_add_f64 v[4:5], v[82:83], v[4:5]
	v_add_f64 v[6:7], v[50:51], v[6:7]
	;; [unrolled: 1-line block ×3, first 2 shown]
	v_mul_f64 v[176:177], v[124:125], s[28:29]
	v_mul_f64 v[118:119], v[118:119], s[30:31]
	v_add_f64 v[96:97], v[98:99], -v[96:97]
	v_add_f64 v[76:77], v[90:91], v[76:77]
	v_add_f64 v[90:91], v[100:101], -v[110:111]
	v_add_f64 v[4:5], v[88:89], v[4:5]
	v_add_f64 v[6:7], v[66:67], v[6:7]
	v_fma_f64 v[178:179], s[12:13], v[142:143], v[176:177]
	v_mul_f64 v[124:125], v[124:125], s[44:45]
	v_add_f64 v[76:77], v[96:97], v[76:77]
	v_add_f64 v[86:87], v[112:113], -v[118:119]
	v_add_f64 v[4:5], v[90:91], v[4:5]
	v_add_f64 v[6:7], v[62:63], v[6:7]
	;; [unrolled: 1-line block ×3, first 2 shown]
	v_mul_f64 v[178:179], v[134:135], s[44:45]
	v_mul_f64 v[126:127], v[134:135], s[48:49]
	;; [unrolled: 1-line block ×3, first 2 shown]
	v_add_f64 v[76:77], v[116:117], v[76:77]
	v_add_f64 v[80:81], v[120:121], -v[124:125]
	v_add_f64 v[4:5], v[86:87], v[4:5]
	v_add_f64 v[6:7], v[54:55], v[6:7]
	v_fma_f64 v[142:143], v[142:143], s[12:13], -v[176:177]
	v_add_f64 v[76:77], v[122:123], v[76:77]
	v_add_f64 v[78:79], v[128:129], -v[134:135]
	v_add_f64 v[4:5], v[80:81], v[4:5]
	v_add_f64 v[6:7], v[58:59], v[6:7]
	s_movk_i32 s33, 0x88
	v_fma_f64 v[180:181], s[24:25], v[146:147], v[178:179]
	v_fma_f64 v[146:147], v[146:147], s[24:25], -v[178:179]
	v_add_f64 v[84:85], v[142:143], v[84:85]
	v_add_f64 v[126:127], v[138:139], -v[126:127]
	v_add_f64 v[76:77], v[132:133], v[76:77]
	v_add_f64 v[4:5], v[78:79], v[4:5]
	;; [unrolled: 1-line block ×3, first 2 shown]
	v_mad_u32_u24 v74, v106, s33, 0
	v_add_f64 v[164:165], v[180:181], v[164:165]
	v_add_f64 v[84:85], v[146:147], v[84:85]
	;; [unrolled: 1-line block ×3, first 2 shown]
	ds_write2_b64 v74, v[6:7], v[4:5] offset1:1
	ds_write2_b64 v74, v[76:77], v[84:85] offset0:2 offset1:3
	ds_write2_b64 v74, v[158:159], v[156:157] offset0:4 offset1:5
	;; [unrolled: 1-line block ×7, first 2 shown]
	ds_write_b64 v74, v[2:3] offset:128
.LBB0_13:
	s_or_b64 exec, exec, s[50:51]
	v_add_f64 v[150:151], v[10:11], -v[70:71]
	v_add_f64 v[146:147], v[72:73], v[12:13]
	v_mul_f64 v[154:155], v[150:151], s[22:23]
	v_add_f64 v[142:143], v[14:15], -v[58:59]
	v_fma_f64 v[4:5], v[146:147], s[2:3], -v[154:155]
	v_mul_f64 v[156:157], v[150:151], s[26:27]
	v_add_f64 v[134:135], v[60:61], v[16:17]
	v_mul_f64 v[148:149], v[142:143], s[26:27]
	v_add_f64 v[4:5], v[8:9], v[4:5]
	v_fma_f64 v[6:7], v[146:147], s[8:9], -v[156:157]
	v_fma_f64 v[10:11], v[134:135], s[8:9], -v[148:149]
	v_mul_f64 v[152:153], v[142:143], s[28:29]
	v_add_f64 v[124:125], v[18:19], -v[54:55]
	v_add_f64 v[6:7], v[8:9], v[6:7]
	v_add_f64 v[4:5], v[10:11], v[4:5]
	v_fma_f64 v[10:11], v[134:135], s[12:13], -v[152:153]
	v_add_f64 v[122:123], v[56:57], v[20:21]
	v_mul_f64 v[138:139], v[124:125], s[36:37]
	v_add_f64 v[6:7], v[10:11], v[6:7]
	v_fma_f64 v[10:11], v[122:123], s[14:15], -v[138:139]
	v_mul_f64 v[144:145], v[124:125], s[30:31]
	v_add_f64 v[112:113], v[22:23], -v[62:63]
	v_add_f64 v[4:5], v[10:11], v[4:5]
	v_fma_f64 v[10:11], v[122:123], s[16:17], -v[144:145]
	v_add_f64 v[110:111], v[64:65], v[24:25]
	v_mul_f64 v[126:127], v[112:113], s[28:29]
	v_add_f64 v[6:7], v[10:11], v[6:7]
	v_fma_f64 v[10:11], v[110:111], s[12:13], -v[126:127]
	v_mul_f64 v[128:129], v[112:113], s[34:35]
	v_add_f64 v[70:71], v[26:27], -v[66:67]
	v_add_f64 v[4:5], v[10:11], v[4:5]
	v_fma_f64 v[10:11], v[110:111], s[18:19], -v[128:129]
	v_add_f64 v[62:63], v[68:69], v[28:29]
	v_mul_f64 v[114:115], v[70:71], s[38:39]
	v_add_f64 v[6:7], v[10:11], v[6:7]
	v_fma_f64 v[10:11], v[62:63], s[20:21], -v[114:115]
	v_mul_f64 v[118:119], v[70:71], s[40:41]
	v_add_f64 v[50:51], v[30:31], -v[50:51]
	v_add_f64 v[4:5], v[10:11], v[4:5]
	v_fma_f64 v[10:11], v[62:63], s[24:25], -v[118:119]
	v_add_f64 v[54:55], v[52:53], v[32:33]
	v_mul_f64 v[100:101], v[50:51], s[30:31]
	v_add_f64 v[6:7], v[10:11], v[6:7]
	v_fma_f64 v[10:11], v[54:55], s[16:17], -v[100:101]
	v_mul_f64 v[102:103], v[50:51], s[42:43]
	v_add_f64 v[34:35], v[34:35], -v[46:47]
	v_add_f64 v[4:5], v[10:11], v[4:5]
	v_fma_f64 v[10:11], v[54:55], s[20:21], -v[102:103]
	v_add_f64 v[30:31], v[48:49], v[36:37]
	v_mul_f64 v[46:47], v[34:35], s[44:45]
	v_add_f64 v[6:7], v[10:11], v[6:7]
	v_fma_f64 v[10:11], v[30:31], s[24:25], -v[46:47]
	v_mul_f64 v[58:59], v[34:35], s[46:47]
	v_lshl_add_u32 v107, v106, 3, 0
	v_add_u32_e32 v166, 0x165, v106
	v_add_f64 v[4:5], v[10:11], v[4:5]
	v_fma_f64 v[10:11], v[30:31], s[14:15], -v[58:59]
	v_add_u32_e32 v161, 0xc00, v107
	v_add_u32_e32 v160, 0x2400, v107
	;; [unrolled: 1-line block ×5, first 2 shown]
	v_lshl_add_u32 v165, v166, 3, 0
	v_add_u32_e32 v164, 0x1c00, v107
	v_add_f64 v[66:67], v[10:11], v[6:7]
	s_waitcnt lgkmcnt(0)
	s_barrier
	ds_read2_b64 v[78:81], v107 offset1:119
	ds_read2_b64 v[74:77], v161 offset0:92 offset1:211
	ds_read2_b64 v[86:89], v160 offset0:38 offset1:157
	;; [unrolled: 1-line block ×3, first 2 shown]
	v_lshl_add_u32 v159, v158, 3, 0
	ds_read2_b64 v[90:93], v163 offset0:20 offset1:139
	ds_read_b64 v[10:11], v165
	ds_read2_b64 v[94:97], v164 offset0:56 offset1:175
	ds_read_b64 v[14:15], v159
	ds_read_b64 v[18:19], v107 offset:13328
	v_add_f64 v[26:27], v[38:39], -v[42:43]
	v_add_f64 v[22:23], v[44:45], v[40:41]
	v_mul_f64 v[42:43], v[26:27], s[34:35]
	v_fma_f64 v[6:7], v[22:23], s[18:19], -v[42:43]
	v_mul_f64 v[38:39], v[26:27], s[48:49]
	v_add_f64 v[6:7], v[6:7], v[4:5]
	v_fma_f64 v[4:5], v[22:23], s[2:3], -v[38:39]
	v_add_f64 v[4:5], v[4:5], v[66:67]
	s_waitcnt lgkmcnt(0)
	s_barrier
	s_and_saveexec_b64 s[22:23], s[0:1]
	s_cbranch_execz .LBB0_15
; %bb.14:
	v_add_f64 v[12:13], v[12:13], v[8:9]
	v_add_f64 v[12:13], v[16:17], v[12:13]
	;; [unrolled: 1-line block ×11, first 2 shown]
	v_mul_f64 v[170:171], v[146:147], s[8:9]
	v_mul_f64 v[172:173], v[134:135], s[8:9]
	;; [unrolled: 1-line block ×8, first 2 shown]
	v_add_f64 v[12:13], v[68:69], v[12:13]
	s_mov_b32 s34, 0x7c9e640b
	s_mov_b32 s18, 0xeb564b22
	s_mov_b32 s8, 0x923c349f
	s_mov_b32 s14, 0x6c9a05f6
	s_mov_b32 s20, 0x4363dd80
	s_mov_b32 s28, 0xacd6c6b4
	v_mul_f64 v[168:169], v[146:147], s[2:3]
	v_mul_f64 v[174:175], v[134:135], s[12:13]
	;; [unrolled: 1-line block ×4, first 2 shown]
	v_add_f64 v[12:13], v[64:65], v[12:13]
	s_mov_b32 s35, 0xbfeca52d
	s_mov_b32 s2, 0x2b2883cd
	;; [unrolled: 1-line block ×10, first 2 shown]
	v_add_f64 v[12:13], v[56:57], v[12:13]
	v_mul_f64 v[24:25], v[150:151], s[34:35]
	s_mov_b32 s3, 0x3fdc86fa
	v_mul_f64 v[32:33], v[150:151], s[18:19]
	s_mov_b32 s1, 0x3fb79ee6
	;; [unrolled: 2-line block ×3, first 2 shown]
	v_mul_f64 v[48:49], v[150:151], s[14:15]
	v_mul_f64 v[56:57], v[150:151], s[20:21]
	;; [unrolled: 1-line block ×3, first 2 shown]
	s_mov_b32 s31, 0xbfef7484
	v_add_f64 v[12:13], v[60:61], v[12:13]
	v_add_f64 v[16:17], v[168:169], v[154:155]
	;; [unrolled: 1-line block ×3, first 2 shown]
	v_fma_f64 v[28:29], s[2:3], v[146:147], v[24:25]
	v_fma_f64 v[24:25], v[146:147], s[2:3], -v[24:25]
	v_fma_f64 v[36:37], s[0:1], v[146:147], v[32:33]
	v_fma_f64 v[32:33], v[146:147], s[0:1], -v[32:33]
	;; [unrolled: 2-line block ×6, first 2 shown]
	v_add_f64 v[16:17], v[8:9], v[16:17]
	v_add_f64 v[20:21], v[8:9], v[20:21]
	;; [unrolled: 1-line block ×18, first 2 shown]
	v_mul_f64 v[64:65], v[142:143], s[14:15]
	v_add_f64 v[12:13], v[72:73], v[12:13]
	v_fma_f64 v[72:73], s[16:17], v[134:135], v[64:65]
	v_fma_f64 v[64:65], v[134:135], s[16:17], -v[64:65]
	v_add_f64 v[24:25], v[64:65], v[24:25]
	v_mul_f64 v[64:65], v[142:143], s[28:29]
	v_add_f64 v[28:29], v[72:73], v[28:29]
	v_fma_f64 v[72:73], s[30:31], v[134:135], v[64:65]
	v_fma_f64 v[64:65], v[134:135], s[30:31], -v[64:65]
	s_mov_b32 s27, 0x3fe0d888
	s_mov_b32 s26, s20
	v_add_f64 v[32:33], v[64:65], v[32:33]
	v_mul_f64 v[64:65], v[142:143], s[26:27]
	v_add_f64 v[36:37], v[72:73], v[36:37]
	v_fma_f64 v[72:73], s[24:25], v[134:135], v[64:65]
	v_fma_f64 v[64:65], v[134:135], s[24:25], -v[64:65]
	s_mov_b32 s45, 0x3feec746
	s_mov_b32 s44, s8
	;; [unrolled: 7-line block ×3, first 2 shown]
	v_add_f64 v[48:49], v[64:65], v[48:49]
	v_mul_f64 v[64:65], v[142:143], s[26:27]
	s_mov_b32 s46, 0x5d8e7cdc
	v_add_f64 v[52:53], v[72:73], v[52:53]
	v_fma_f64 v[72:73], s[2:3], v[134:135], v[64:65]
	v_fma_f64 v[64:65], v[134:135], s[2:3], -v[64:65]
	s_mov_b32 s47, 0x3fd71e95
	s_mov_b32 s40, 0x370991
	v_add_f64 v[56:57], v[64:65], v[56:57]
	v_mul_f64 v[64:65], v[142:143], s[46:47]
	s_mov_b32 s41, 0x3fedd6d0
	v_add_f64 v[60:61], v[72:73], v[60:61]
	v_fma_f64 v[72:73], s[40:41], v[134:135], v[64:65]
	v_fma_f64 v[64:65], v[134:135], s[40:41], -v[64:65]
	v_mul_f64 v[178:179], v[122:123], s[16:17]
	v_add_f64 v[8:9], v[64:65], v[8:9]
	v_add_f64 v[64:65], v[176:177], v[138:139]
	;; [unrolled: 1-line block ×4, first 2 shown]
	s_mov_b32 s37, 0x3fc7851a
	s_mov_b32 s36, s28
	v_add_f64 v[20:21], v[64:65], v[20:21]
	v_mul_f64 v[64:65], v[124:125], s[36:37]
	v_add_f64 v[68:69], v[72:73], v[68:69]
	v_fma_f64 v[72:73], s[30:31], v[122:123], v[64:65]
	v_fma_f64 v[64:65], v[122:123], s[30:31], -v[64:65]
	v_add_f64 v[24:25], v[64:65], v[24:25]
	v_mul_f64 v[64:65], v[124:125], s[44:45]
	s_mov_b32 s36, 0x2a9d6da3
	v_add_f64 v[28:29], v[72:73], v[28:29]
	v_fma_f64 v[72:73], s[12:13], v[122:123], v[64:65]
	v_fma_f64 v[64:65], v[122:123], s[12:13], -v[64:65]
	s_mov_b32 s37, 0x3fe58eea
	s_mov_b32 s38, 0x75d4884
	v_add_f64 v[32:33], v[64:65], v[32:33]
	v_mul_f64 v[64:65], v[124:125], s[36:37]
	s_mov_b32 s39, 0x3fe7a5f6
	v_add_f64 v[36:37], v[72:73], v[36:37]
	v_fma_f64 v[72:73], s[38:39], v[122:123], v[64:65]
	v_fma_f64 v[64:65], v[122:123], s[38:39], -v[64:65]
	s_mov_b32 s43, 0xbfd71e95
	s_mov_b32 s42, s46
	v_add_f64 v[40:41], v[64:65], v[40:41]
	v_mul_f64 v[64:65], v[124:125], s[42:43]
	v_add_f64 v[44:45], v[72:73], v[44:45]
	v_fma_f64 v[72:73], s[40:41], v[122:123], v[64:65]
	v_fma_f64 v[64:65], v[122:123], s[40:41], -v[64:65]
	v_add_f64 v[48:49], v[64:65], v[48:49]
	v_mul_f64 v[64:65], v[124:125], s[18:19]
	v_add_f64 v[52:53], v[72:73], v[52:53]
	v_fma_f64 v[72:73], s[0:1], v[122:123], v[64:65]
	v_fma_f64 v[64:65], v[122:123], s[0:1], -v[64:65]
	;; [unrolled: 5-line block ×3, first 2 shown]
	v_add_f64 v[8:9], v[64:65], v[8:9]
	v_add_f64 v[64:65], v[180:181], v[126:127]
	;; [unrolled: 1-line block ×5, first 2 shown]
	v_mul_f64 v[64:65], v[112:113], s[44:45]
	v_add_f64 v[68:69], v[72:73], v[68:69]
	v_fma_f64 v[72:73], s[12:13], v[110:111], v[64:65]
	v_fma_f64 v[64:65], v[110:111], s[12:13], -v[64:65]
	v_add_f64 v[24:25], v[64:65], v[24:25]
	v_mul_f64 v[64:65], v[112:113], s[46:47]
	v_add_f64 v[28:29], v[72:73], v[28:29]
	v_fma_f64 v[72:73], s[40:41], v[110:111], v[64:65]
	v_fma_f64 v[64:65], v[110:111], s[40:41], -v[64:65]
	v_add_f64 v[32:33], v[64:65], v[32:33]
	;; [unrolled: 5-line block ×3, first 2 shown]
	v_mul_f64 v[64:65], v[112:113], s[20:21]
	v_add_f64 v[44:45], v[72:73], v[44:45]
	v_fma_f64 v[72:73], s[24:25], v[110:111], v[64:65]
	v_fma_f64 v[64:65], v[110:111], s[24:25], -v[64:65]
	s_mov_b32 s45, 0x3fe9895b
	s_mov_b32 s44, s14
	v_add_f64 v[48:49], v[64:65], v[48:49]
	v_mul_f64 v[64:65], v[112:113], s[44:45]
	v_add_f64 v[52:53], v[72:73], v[52:53]
	v_fma_f64 v[72:73], s[16:17], v[110:111], v[64:65]
	v_fma_f64 v[64:65], v[110:111], s[16:17], -v[64:65]
	v_add_f64 v[56:57], v[64:65], v[56:57]
	v_mul_f64 v[64:65], v[112:113], s[36:37]
	v_add_f64 v[60:61], v[72:73], v[60:61]
	v_fma_f64 v[72:73], s[38:39], v[110:111], v[64:65]
	v_fma_f64 v[64:65], v[110:111], s[38:39], -v[64:65]
	v_mul_f64 v[136:137], v[62:63], s[24:25]
	v_add_f64 v[8:9], v[64:65], v[8:9]
	v_add_f64 v[64:65], v[140:141], v[114:115]
	;; [unrolled: 1-line block ×5, first 2 shown]
	v_mul_f64 v[64:65], v[70:71], s[36:37]
	v_add_f64 v[68:69], v[72:73], v[68:69]
	v_fma_f64 v[72:73], s[38:39], v[62:63], v[64:65]
	v_fma_f64 v[64:65], v[62:63], s[38:39], -v[64:65]
	v_add_f64 v[24:25], v[64:65], v[24:25]
	v_mul_f64 v[64:65], v[70:71], s[34:35]
	v_add_f64 v[28:29], v[72:73], v[28:29]
	v_fma_f64 v[72:73], s[2:3], v[62:63], v[64:65]
	v_fma_f64 v[64:65], v[62:63], s[2:3], -v[64:65]
	v_add_f64 v[32:33], v[64:65], v[32:33]
	v_mul_f64 v[64:65], v[70:71], s[28:29]
	v_add_f64 v[36:37], v[72:73], v[36:37]
	v_fma_f64 v[72:73], s[30:31], v[62:63], v[64:65]
	v_fma_f64 v[64:65], v[62:63], s[30:31], -v[64:65]
	s_mov_b32 s35, 0x3fefdd0d
	s_mov_b32 s34, s18
	v_add_f64 v[40:41], v[64:65], v[40:41]
	v_mul_f64 v[64:65], v[70:71], s[34:35]
	v_add_f64 v[44:45], v[72:73], v[44:45]
	v_fma_f64 v[72:73], s[0:1], v[62:63], v[64:65]
	v_fma_f64 v[64:65], v[62:63], s[0:1], -v[64:65]
	v_add_f64 v[48:49], v[64:65], v[48:49]
	v_mul_f64 v[64:65], v[70:71], s[42:43]
	v_add_f64 v[52:53], v[72:73], v[52:53]
	v_fma_f64 v[72:73], s[40:41], v[62:63], v[64:65]
	v_fma_f64 v[64:65], v[62:63], s[40:41], -v[64:65]
	v_add_f64 v[56:57], v[64:65], v[56:57]
	v_mul_f64 v[64:65], v[70:71], s[14:15]
	v_mul_f64 v[132:133], v[54:55], s[16:17]
	v_fma_f64 v[70:71], s[16:17], v[62:63], v[64:65]
	v_fma_f64 v[62:63], v[62:63], s[16:17], -v[64:65]
	v_add_f64 v[8:9], v[62:63], v[8:9]
	v_add_f64 v[62:63], v[132:133], v[100:101]
	;; [unrolled: 1-line block ×5, first 2 shown]
	v_mul_f64 v[62:63], v[50:51], s[42:43]
	v_fma_f64 v[64:65], s[40:41], v[54:55], v[62:63]
	v_fma_f64 v[62:63], v[54:55], s[40:41], -v[62:63]
	v_add_f64 v[24:25], v[62:63], v[24:25]
	v_mul_f64 v[62:63], v[50:51], s[20:21]
	v_add_f64 v[28:29], v[64:65], v[28:29]
	v_fma_f64 v[64:65], s[24:25], v[54:55], v[62:63]
	v_fma_f64 v[62:63], v[54:55], s[24:25], -v[62:63]
	v_add_f64 v[32:33], v[62:63], v[32:33]
	v_mul_f64 v[62:63], v[50:51], s[34:35]
	v_add_f64 v[36:37], v[64:65], v[36:37]
	v_fma_f64 v[64:65], s[0:1], v[54:55], v[62:63]
	v_fma_f64 v[62:63], v[54:55], s[0:1], -v[62:63]
	s_mov_b32 s47, 0xbfe58eea
	s_mov_b32 s46, s36
	v_add_f64 v[40:41], v[62:63], v[40:41]
	v_mul_f64 v[62:63], v[50:51], s[46:47]
	v_mul_f64 v[120:121], v[30:31], s[24:25]
	v_add_f64 v[44:45], v[64:65], v[44:45]
	v_fma_f64 v[64:65], s[38:39], v[54:55], v[62:63]
	v_fma_f64 v[62:63], v[54:55], s[38:39], -v[62:63]
	v_add_f64 v[48:49], v[62:63], v[48:49]
	v_mul_f64 v[62:63], v[50:51], s[28:29]
	v_add_f64 v[46:47], v[120:121], v[46:47]
	v_add_f64 v[52:53], v[64:65], v[52:53]
	v_fma_f64 v[64:65], s[30:31], v[54:55], v[62:63]
	v_fma_f64 v[62:63], v[54:55], s[30:31], -v[62:63]
	v_mul_f64 v[50:51], v[50:51], s[26:27]
	v_add_f64 v[16:17], v[46:47], v[16:17]
	v_add_f64 v[46:47], v[116:117], v[58:59]
	;; [unrolled: 1-line block ×3, first 2 shown]
	v_fma_f64 v[62:63], s[2:3], v[54:55], v[50:51]
	v_fma_f64 v[50:51], v[54:55], s[2:3], -v[50:51]
	v_add_f64 v[20:21], v[46:47], v[20:21]
	v_mul_f64 v[46:47], v[34:35], s[18:19]
	v_add_f64 v[8:9], v[50:51], v[8:9]
	v_fma_f64 v[50:51], s[0:1], v[30:31], v[46:47]
	v_fma_f64 v[46:47], v[30:31], s[0:1], -v[46:47]
	v_add_f64 v[24:25], v[46:47], v[24:25]
	v_mul_f64 v[46:47], v[34:35], s[44:45]
	v_add_f64 v[28:29], v[50:51], v[28:29]
	;; [unrolled: 5-line block ×4, first 2 shown]
	v_fma_f64 v[50:51], s[30:31], v[30:31], v[46:47]
	v_fma_f64 v[46:47], v[30:31], s[30:31], -v[46:47]
	v_add_f64 v[46:47], v[46:47], v[48:49]
	v_mul_f64 v[48:49], v[34:35], s[36:37]
	v_mul_f64 v[34:35], v[34:35], s[8:9]
	v_add_f64 v[50:51], v[50:51], v[52:53]
	v_fma_f64 v[52:53], s[38:39], v[30:31], v[48:49]
	v_fma_f64 v[48:49], v[30:31], s[38:39], -v[48:49]
	v_fma_f64 v[54:55], s[12:13], v[30:31], v[34:35]
	v_fma_f64 v[30:31], v[30:31], s[12:13], -v[34:35]
	v_add_f64 v[8:9], v[30:31], v[8:9]
	v_add_f64 v[30:31], v[98:99], v[42:43]
	;; [unrolled: 1-line block ×5, first 2 shown]
	v_mul_f64 v[30:31], v[26:27], s[20:21]
	v_fma_f64 v[34:35], s[24:25], v[22:23], v[30:31]
	v_fma_f64 v[30:31], v[22:23], s[24:25], -v[30:31]
	v_add_f64 v[24:25], v[30:31], v[24:25]
	v_mul_f64 v[30:31], v[26:27], s[36:37]
	v_add_f64 v[28:29], v[34:35], v[28:29]
	v_fma_f64 v[34:35], s[38:39], v[22:23], v[30:31]
	v_fma_f64 v[30:31], v[22:23], s[38:39], -v[30:31]
	v_add_f64 v[30:31], v[30:31], v[32:33]
	v_mul_f64 v[32:33], v[26:27], s[14:15]
	v_add_f64 v[34:35], v[34:35], v[36:37]
	v_fma_f64 v[36:37], s[16:17], v[22:23], v[32:33]
	v_fma_f64 v[32:33], v[22:23], s[16:17], -v[32:33]
	v_mul_f64 v[38:39], v[26:27], s[26:27]
	v_add_f64 v[60:61], v[72:73], v[60:61]
	v_add_f64 v[68:69], v[70:71], v[68:69]
	v_add_f64 v[32:33], v[32:33], v[40:41]
	v_fma_f64 v[40:41], s[2:3], v[22:23], v[38:39]
	v_fma_f64 v[38:39], v[22:23], s[2:3], -v[38:39]
	v_mul_f64 v[42:43], v[26:27], s[8:9]
	v_mul_f64 v[26:27], v[26:27], s[34:35]
	v_add_f64 v[60:61], v[64:65], v[60:61]
	v_add_f64 v[62:63], v[62:63], v[68:69]
	;; [unrolled: 1-line block ×4, first 2 shown]
	v_fma_f64 v[44:45], s[12:13], v[22:23], v[42:43]
	v_fma_f64 v[42:43], v[22:23], s[12:13], -v[42:43]
	v_fma_f64 v[46:47], s[0:1], v[22:23], v[26:27]
	v_fma_f64 v[22:23], v[22:23], s[0:1], -v[26:27]
	v_add_f64 v[52:53], v[52:53], v[60:61]
	v_add_f64 v[48:49], v[48:49], v[56:57]
	;; [unrolled: 1-line block ×4, first 2 shown]
	v_lshl_add_u32 v22, v106, 7, v107
	v_add_f64 v[40:41], v[40:41], v[50:51]
	v_add_f64 v[44:45], v[44:45], v[52:53]
	;; [unrolled: 1-line block ×4, first 2 shown]
	ds_write2_b64 v22, v[12:13], v[16:17] offset1:1
	ds_write2_b64 v22, v[20:21], v[28:29] offset0:2 offset1:3
	ds_write2_b64 v22, v[34:35], v[36:37] offset0:4 offset1:5
	;; [unrolled: 1-line block ×7, first 2 shown]
	ds_write_b64 v22, v[6:7] offset:128
.LBB0_15:
	s_or_b64 exec, exec, s[22:23]
	s_movk_i32 s0, 0xf1
	v_mul_lo_u16_sdwa v9, v106, s0 dst_sel:DWORD dst_unused:UNUSED_PAD src0_sel:BYTE_0 src1_sel:DWORD
	v_lshrrev_b16_e32 v115, 12, v9
	v_mul_lo_u16_e32 v9, 17, v115
	v_sub_u16_e32 v134, v106, v9
	v_mov_b32_e32 v9, 5
	v_add_u32_e32 v114, 0x77, v106
	v_lshlrev_b32_sdwa v12, v9, v134 dst_sel:DWORD dst_unused:UNUSED_PAD src0_sel:DWORD src1_sel:BYTE_0
	s_load_dwordx2 s[2:3], s[6:7], 0x0
	s_waitcnt lgkmcnt(0)
	s_barrier
	global_load_dwordx4 v[20:23], v12, s[4:5] offset:16
	global_load_dwordx4 v[24:27], v12, s[4:5]
	v_mul_lo_u16_sdwa v12, v114, s0 dst_sel:DWORD dst_unused:UNUSED_PAD src0_sel:BYTE_0 src1_sel:DWORD
	v_lshrrev_b16_e32 v135, 12, v12
	v_mul_lo_u16_e32 v12, 17, v135
	v_sub_u16_e32 v136, v114, v12
	v_lshlrev_b32_sdwa v9, v9, v136 dst_sel:DWORD dst_unused:UNUSED_PAD src0_sel:DWORD src1_sel:BYTE_0
	s_mov_b32 s0, 0xf0f1
	global_load_dwordx4 v[28:31], v9, s[4:5] offset:16
	global_load_dwordx4 v[32:35], v9, s[4:5]
	v_mul_u32_u24_sdwa v9, v158, s0 dst_sel:DWORD dst_unused:UNUSED_PAD src0_sel:WORD_0 src1_sel:DWORD
	v_lshrrev_b32_e32 v137, 20, v9
	v_mul_lo_u16_e32 v9, 17, v137
	v_sub_u16_e32 v138, v158, v9
	v_lshlrev_b32_e32 v9, 5, v138
	global_load_dwordx4 v[36:39], v9, s[4:5] offset:16
	global_load_dwordx4 v[40:43], v9, s[4:5]
	v_mul_u32_u24_sdwa v9, v166, s0 dst_sel:DWORD dst_unused:UNUSED_PAD src0_sel:WORD_0 src1_sel:DWORD
	v_lshrrev_b32_e32 v139, 20, v9
	v_mul_lo_u16_e32 v9, 17, v139
	v_sub_u16_e32 v140, v166, v9
	v_add_u32_e32 v8, 0x1dc, v106
	v_lshlrev_b32_e32 v9, 5, v140
	global_load_dwordx4 v[44:47], v9, s[4:5] offset:16
	global_load_dwordx4 v[48:51], v9, s[4:5]
	v_mul_u32_u24_sdwa v9, v8, s0 dst_sel:DWORD dst_unused:UNUSED_PAD src0_sel:WORD_0 src1_sel:DWORD
	v_lshrrev_b32_e32 v141, 20, v9
	v_mul_lo_u16_e32 v9, 17, v141
	v_sub_u16_e32 v142, v8, v9
	v_lshlrev_b32_e32 v8, 5, v142
	global_load_dwordx4 v[52:55], v8, s[4:5]
	global_load_dwordx4 v[56:59], v8, s[4:5] offset:16
	ds_read2_b64 v[60:63], v107 offset1:119
	ds_read2_b64 v[64:67], v161 offset0:92 offset1:211
	ds_read2_b64 v[68:71], v160 offset0:38 offset1:157
	;; [unrolled: 1-line block ×4, first 2 shown]
	ds_read_b64 v[16:17], v165
	ds_read2_b64 v[116:119], v164 offset0:56 offset1:175
	ds_read_b64 v[72:73], v159
	ds_read_b64 v[8:9], v107 offset:13328
	s_mov_b32 s0, 0xe8584caa
	s_mov_b32 s1, 0x3febb67a
	;; [unrolled: 1-line block ×4, first 2 shown]
	s_waitcnt lgkmcnt(0)
	s_barrier
	s_mov_b32 s8, 0x134454ff
	s_mov_b32 s9, 0x3fee6f0e
	;; [unrolled: 1-line block ×7, first 2 shown]
	s_waitcnt vmcnt(9)
	v_mul_f64 v[102:103], v[68:69], v[22:23]
	s_waitcnt vmcnt(8)
	v_mul_f64 v[12:13], v[66:67], v[26:27]
	v_mul_f64 v[26:27], v[76:77], v[26:27]
	;; [unrolled: 1-line block ×3, first 2 shown]
	v_fma_f64 v[12:13], v[76:77], v[24:25], -v[12:13]
	v_fmac_f64_e32 v[26:27], v[66:67], v[24:25]
	v_fma_f64 v[24:25], v[86:87], v[20:21], -v[102:103]
	s_waitcnt vmcnt(7)
	v_mul_f64 v[122:123], v[70:71], v[30:31]
	s_waitcnt vmcnt(6)
	v_mul_f64 v[120:121], v[98:99], v[34:35]
	v_mul_f64 v[34:35], v[82:83], v[34:35]
	;; [unrolled: 1-line block ×3, first 2 shown]
	v_fmac_f64_e32 v[22:23], v[68:69], v[20:21]
	v_fma_f64 v[20:21], v[82:83], v[32:33], -v[120:121]
	s_waitcnt vmcnt(5)
	v_mul_f64 v[126:127], v[110:111], v[38:39]
	s_waitcnt vmcnt(4)
	v_mul_f64 v[124:125], v[100:101], v[42:43]
	v_mul_f64 v[42:43], v[84:85], v[42:43]
	;; [unrolled: 1-line block ×3, first 2 shown]
	v_fmac_f64_e32 v[34:35], v[98:99], v[32:33]
	v_fma_f64 v[32:33], v[88:89], v[28:29], -v[122:123]
	v_fmac_f64_e32 v[30:31], v[70:71], v[28:29]
	s_waitcnt vmcnt(3)
	v_mul_f64 v[130:131], v[112:113], v[46:47]
	s_waitcnt vmcnt(2)
	v_mul_f64 v[128:129], v[116:117], v[50:51]
	v_mul_f64 v[50:51], v[94:95], v[50:51]
	;; [unrolled: 1-line block ×3, first 2 shown]
	v_fma_f64 v[28:29], v[84:85], v[40:41], -v[124:125]
	v_fmac_f64_e32 v[42:43], v[100:101], v[40:41]
	s_waitcnt vmcnt(1)
	v_mul_f64 v[132:133], v[118:119], v[54:55]
	v_mul_f64 v[54:55], v[96:97], v[54:55]
	v_fma_f64 v[40:41], v[90:91], v[36:37], -v[126:127]
	v_fmac_f64_e32 v[38:39], v[110:111], v[36:37]
	v_fma_f64 v[36:37], v[94:95], v[48:49], -v[128:129]
	v_fmac_f64_e32 v[50:51], v[116:117], v[48:49]
	;; [unrolled: 2-line block ×4, first 2 shown]
	s_waitcnt vmcnt(0)
	v_mul_f64 v[52:53], v[8:9], v[58:59]
	v_fma_f64 v[52:53], v[18:19], v[56:57], -v[52:53]
	v_mul_f64 v[18:19], v[18:19], v[58:59]
	v_fmac_f64_e32 v[18:19], v[8:9], v[56:57]
	v_add_f64 v[56:57], v[12:13], v[24:25]
	v_fma_f64 v[56:57], -0.5, v[56:57], v[78:79]
	v_add_f64 v[58:59], v[26:27], -v[22:23]
	v_fma_f64 v[66:67], s[0:1], v[58:59], v[56:57]
	v_fmac_f64_e32 v[56:57], s[6:7], v[58:59]
	v_add_f64 v[58:59], v[60:61], v[26:27]
	v_add_f64 v[58:59], v[58:59], v[22:23]
	;; [unrolled: 1-line block ×4, first 2 shown]
	v_fma_f64 v[60:61], -0.5, v[22:23], v[60:61]
	v_add_f64 v[12:13], v[12:13], -v[24:25]
	v_add_f64 v[22:23], v[20:21], v[32:33]
	v_fma_f64 v[68:69], s[6:7], v[12:13], v[60:61]
	v_fmac_f64_e32 v[60:61], s[0:1], v[12:13]
	v_add_f64 v[12:13], v[80:81], v[20:21]
	v_fmac_f64_e32 v[80:81], -0.5, v[22:23]
	v_add_f64 v[22:23], v[34:35], -v[30:31]
	v_add_f64 v[8:9], v[8:9], v[24:25]
	v_fma_f64 v[24:25], s[0:1], v[22:23], v[80:81]
	v_fmac_f64_e32 v[80:81], s[6:7], v[22:23]
	v_add_f64 v[22:23], v[62:63], v[34:35]
	v_add_f64 v[70:71], v[22:23], v[30:31]
	;; [unrolled: 1-line block ×3, first 2 shown]
	v_fmac_f64_e32 v[62:63], -0.5, v[22:23]
	v_add_f64 v[20:21], v[20:21], -v[32:33]
	v_add_f64 v[22:23], v[28:29], v[40:41]
	v_fma_f64 v[76:77], s[6:7], v[20:21], v[62:63]
	v_fmac_f64_e32 v[62:63], s[0:1], v[20:21]
	v_add_f64 v[20:21], v[14:15], v[28:29]
	v_fmac_f64_e32 v[14:15], -0.5, v[22:23]
	v_add_f64 v[22:23], v[42:43], -v[38:39]
	v_fma_f64 v[26:27], s[0:1], v[22:23], v[14:15]
	v_fmac_f64_e32 v[14:15], s[6:7], v[22:23]
	v_add_f64 v[22:23], v[72:73], v[42:43]
	v_add_f64 v[78:79], v[22:23], v[38:39]
	;; [unrolled: 1-line block ×3, first 2 shown]
	v_fmac_f64_e32 v[72:73], -0.5, v[22:23]
	v_add_f64 v[22:23], v[28:29], -v[40:41]
	v_add_f64 v[28:29], v[36:37], v[48:49]
	v_add_f64 v[20:21], v[20:21], v[40:41]
	v_fma_f64 v[40:41], s[6:7], v[22:23], v[72:73]
	v_fmac_f64_e32 v[72:73], s[0:1], v[22:23]
	v_add_f64 v[22:23], v[10:11], v[36:37]
	v_fmac_f64_e32 v[10:11], -0.5, v[28:29]
	v_add_f64 v[28:29], v[50:51], -v[46:47]
	v_fma_f64 v[30:31], s[0:1], v[28:29], v[10:11]
	v_fmac_f64_e32 v[10:11], s[6:7], v[28:29]
	v_add_f64 v[28:29], v[16:17], v[50:51]
	v_add_f64 v[42:43], v[28:29], v[46:47]
	;; [unrolled: 1-line block ×4, first 2 shown]
	v_fmac_f64_e32 v[16:17], -0.5, v[28:29]
	v_add_f64 v[28:29], v[36:37], -v[48:49]
	v_add_f64 v[32:33], v[44:45], v[52:53]
	v_fma_f64 v[46:47], s[6:7], v[28:29], v[16:17]
	v_fmac_f64_e32 v[16:17], s[0:1], v[28:29]
	v_add_f64 v[28:29], v[74:75], v[44:45]
	v_fmac_f64_e32 v[74:75], -0.5, v[32:33]
	v_add_f64 v[32:33], v[54:55], -v[18:19]
	v_fma_f64 v[34:35], s[0:1], v[32:33], v[74:75]
	v_fmac_f64_e32 v[74:75], s[6:7], v[32:33]
	v_add_f64 v[32:33], v[64:65], v[54:55]
	v_add_f64 v[22:23], v[22:23], v[48:49]
	;; [unrolled: 1-line block ×4, first 2 shown]
	v_fmac_f64_e32 v[64:65], -0.5, v[18:19]
	v_add_f64 v[18:19], v[44:45], -v[52:53]
	v_fma_f64 v[44:45], s[6:7], v[18:19], v[64:65]
	v_fmac_f64_e32 v[64:65], s[0:1], v[18:19]
	v_mul_u32_u24_e32 v18, 0x198, v115
	v_mov_b32_e32 v115, 3
	v_lshlrev_b32_sdwa v19, v115, v134 dst_sel:DWORD dst_unused:UNUSED_PAD src0_sel:DWORD src1_sel:BYTE_0
	v_add3_u32 v18, 0, v18, v19
	ds_write2_b64 v18, v[8:9], v[66:67] offset1:17
	ds_write_b64 v18, v[56:57] offset:272
	v_mul_u32_u24_e32 v8, 0x198, v135
	v_lshlrev_b32_sdwa v9, v115, v136 dst_sel:DWORD dst_unused:UNUSED_PAD src0_sel:DWORD src1_sel:BYTE_0
	s_mov_b32 s1, 0x5040100
	s_movk_i32 s0, 0x198
	v_add3_u32 v19, 0, v8, v9
	v_perm_b32 v8, v139, v137, s1
	v_pk_mul_lo_u16 v8, v8, s0 op_sel_hi:[1,0]
	ds_write2_b64 v19, v[12:13], v[24:25] offset1:17
	ds_write_b64 v19, v[80:81] offset:272
	v_and_b32_e32 v9, 0xfff8, v8
	v_lshlrev_b32_e32 v12, 3, v138
	v_add3_u32 v50, 0, v9, v12
	v_lshrrev_b32_e32 v8, 16, v8
	v_lshlrev_b32_e32 v9, 3, v140
	v_add3_u32 v51, 0, v8, v9
	v_mul_u32_u24_e32 v8, 0x198, v141
	v_lshlrev_b32_e32 v9, 3, v142
	v_add_f64 v[28:29], v[28:29], v[52:53]
	v_add3_u32 v52, 0, v8, v9
	s_movk_i32 s0, 0xa1
	ds_write2_b64 v50, v[20:21], v[26:27] offset1:17
	ds_write_b64 v50, v[14:15] offset:272
	ds_write2_b64 v51, v[22:23], v[30:31] offset1:17
	ds_write_b64 v51, v[10:11] offset:272
	;; [unrolled: 2-line block ×3, first 2 shown]
	s_waitcnt lgkmcnt(0)
	s_barrier
	ds_read2_b64 v[8:11], v107 offset1:119
	ds_read2_b64 v[28:31], v162 offset0:74 offset1:193
	ds_read2_b64 v[20:23], v164 offset0:56 offset1:175
	;; [unrolled: 1-line block ×5, first 2 shown]
	ds_read_b64 v[66:67], v165
	ds_read_b64 v[24:25], v159
	ds_read_b64 v[26:27], v107 offset:13328
	s_waitcnt lgkmcnt(0)
	s_barrier
	ds_write2_b64 v18, v[58:59], v[68:69] offset1:17
	ds_write_b64 v18, v[60:61] offset:272
	ds_write2_b64 v19, v[70:71], v[76:77] offset1:17
	ds_write_b64 v19, v[62:63] offset:272
	;; [unrolled: 2-line block ×5, first 2 shown]
	v_mul_lo_u16_sdwa v16, v106, s0 dst_sel:DWORD dst_unused:UNUSED_PAD src0_sel:BYTE_0 src1_sel:DWORD
	v_lshrrev_b16_e32 v140, 13, v16
	v_mul_lo_u16_e32 v16, 51, v140
	v_sub_u16_e32 v141, v106, v16
	v_mov_b32_e32 v16, 6
	v_lshlrev_b32_sdwa v17, v16, v141 dst_sel:DWORD dst_unused:UNUSED_PAD src0_sel:DWORD src1_sel:BYTE_0
	s_waitcnt lgkmcnt(0)
	s_barrier
	global_load_dwordx4 v[40:43], v17, s[4:5] offset:544
	global_load_dwordx4 v[44:47], v17, s[4:5] offset:560
	;; [unrolled: 1-line block ×4, first 2 shown]
	v_mul_lo_u16_sdwa v17, v114, s0 dst_sel:DWORD dst_unused:UNUSED_PAD src0_sel:BYTE_0 src1_sel:DWORD
	v_lshrrev_b16_e32 v142, 13, v17
	v_mul_lo_u16_e32 v17, 51, v142
	v_sub_u16_e32 v143, v114, v17
	v_lshlrev_b32_sdwa v16, v16, v143 dst_sel:DWORD dst_unused:UNUSED_PAD src0_sel:DWORD src1_sel:BYTE_0
	s_mov_b32 s0, 0xa0a1
	global_load_dwordx4 v[58:61], v16, s[4:5] offset:544
	global_load_dwordx4 v[62:65], v16, s[4:5] offset:560
	;; [unrolled: 1-line block ×4, first 2 shown]
	v_mul_u32_u24_sdwa v16, v158, s0 dst_sel:DWORD dst_unused:UNUSED_PAD src0_sel:WORD_0 src1_sel:DWORD
	v_lshrrev_b32_e32 v144, 21, v16
	v_mul_lo_u16_e32 v16, 51, v144
	v_sub_u16_e32 v145, v158, v16
	v_lshlrev_b32_e32 v16, 6, v145
	global_load_dwordx4 v[110:113], v16, s[4:5] offset:544
	global_load_dwordx4 v[116:119], v16, s[4:5] offset:560
	;; [unrolled: 1-line block ×4, first 2 shown]
	ds_read2_b64 v[16:19], v107 offset1:119
	ds_read2_b64 v[68:71], v162 offset0:74 offset1:193
	ds_read2_b64 v[128:131], v164 offset0:56 offset1:175
	;; [unrolled: 1-line block ×3, first 2 shown]
	ds_read_b64 v[78:79], v165
	ds_read2_b64 v[132:135], v161 offset0:92 offset1:211
	ds_read2_b64 v[136:139], v160 offset0:38 offset1:157
	ds_read_b64 v[52:53], v159
	ds_read_b64 v[102:103], v107 offset:13328
	s_mov_b32 s6, 0x4755a5e
	s_mov_b32 s7, 0x3fe2cf23
	;; [unrolled: 1-line block ×3, first 2 shown]
	s_waitcnt lgkmcnt(0)
	s_barrier
	v_cmp_gt_u32_e64 s[0:1], 17, v106
	s_waitcnt vmcnt(11)
	v_mul_f64 v[72:73], v[78:79], v[42:43]
	v_fma_f64 v[90:91], v[66:67], v[40:41], -v[72:73]
	v_mul_f64 v[72:73], v[66:67], v[42:43]
	v_fmac_f64_e32 v[72:73], v[78:79], v[40:41]
	s_waitcnt vmcnt(10)
	v_mul_f64 v[40:41], v[68:69], v[46:47]
	v_fma_f64 v[92:93], v[28:29], v[44:45], -v[40:41]
	v_mul_f64 v[78:79], v[28:29], v[46:47]
	s_waitcnt vmcnt(9)
	v_mul_f64 v[28:29], v[130:131], v[50:51]
	v_fma_f64 v[94:95], v[22:23], v[48:49], -v[28:29]
	v_mul_f64 v[82:83], v[22:23], v[50:51]
	s_waitcnt vmcnt(8)
	v_mul_f64 v[22:23], v[74:75], v[56:57]
	v_fma_f64 v[96:97], v[32:33], v[54:55], -v[22:23]
	s_waitcnt vmcnt(7)
	v_mul_f64 v[22:23], v[132:133], v[60:61]
	v_fmac_f64_e32 v[78:79], v[68:69], v[44:45]
	v_mul_f64 v[88:89], v[32:33], v[56:57]
	v_fma_f64 v[68:69], v[36:37], v[58:59], -v[22:23]
	s_waitcnt vmcnt(6)
	v_mul_f64 v[22:23], v[70:71], v[64:65]
	v_fmac_f64_e32 v[88:89], v[74:75], v[54:55]
	v_fma_f64 v[74:75], v[30:31], v[62:63], -v[22:23]
	s_waitcnt vmcnt(5)
	v_mul_f64 v[22:23], v[136:137], v[86:87]
	v_mul_f64 v[54:55], v[36:37], v[60:61]
	v_fma_f64 v[80:81], v[12:13], v[84:85], -v[22:23]
	v_mul_f64 v[60:61], v[12:13], v[86:87]
	s_waitcnt vmcnt(4)
	v_mul_f64 v[12:13], v[76:77], v[100:101]
	v_fmac_f64_e32 v[60:61], v[136:137], v[84:85]
	v_fma_f64 v[84:85], v[34:35], v[98:99], -v[12:13]
	s_waitcnt vmcnt(3)
	v_mul_f64 v[12:13], v[134:135], v[112:113]
	v_mul_f64 v[56:57], v[30:31], v[64:65]
	v_fma_f64 v[66:67], v[38:39], v[110:111], -v[12:13]
	s_waitcnt vmcnt(2)
	v_mul_f64 v[12:13], v[128:129], v[118:119]
	v_fmac_f64_e32 v[56:57], v[70:71], v[62:63]
	v_mul_f64 v[62:63], v[34:35], v[100:101]
	v_fma_f64 v[70:71], v[20:21], v[116:117], -v[12:13]
	s_waitcnt vmcnt(1)
	v_mul_f64 v[12:13], v[138:139], v[122:123]
	v_fmac_f64_e32 v[54:55], v[132:133], v[58:59]
	v_fmac_f64_e32 v[62:63], v[76:77], v[98:99]
	v_fma_f64 v[76:77], v[14:15], v[120:121], -v[12:13]
	v_mul_f64 v[58:59], v[14:15], v[122:123]
	s_waitcnt vmcnt(0)
	v_mul_f64 v[12:13], v[102:103], v[126:127]
	v_add_f64 v[14:15], v[92:93], v[94:95]
	v_fmac_f64_e32 v[82:83], v[130:131], v[48:49]
	v_fma_f64 v[86:87], v[26:27], v[124:125], -v[12:13]
	v_mul_f64 v[64:65], v[26:27], v[126:127]
	v_fma_f64 v[14:15], -0.5, v[14:15], v[8:9]
	v_add_f64 v[26:27], v[72:73], -v[88:89]
	v_fma_f64 v[28:29], s[8:9], v[26:27], v[14:15]
	v_add_f64 v[30:31], v[78:79], -v[82:83]
	v_add_f64 v[32:33], v[90:91], -v[92:93]
	v_add_f64 v[34:35], v[96:97], -v[94:95]
	v_fmac_f64_e32 v[14:15], s[14:15], v[26:27]
	v_fmac_f64_e32 v[28:29], s[6:7], v[30:31]
	v_add_f64 v[32:33], v[32:33], v[34:35]
	v_fmac_f64_e32 v[14:15], s[16:17], v[30:31]
	v_fmac_f64_e32 v[28:29], s[12:13], v[32:33]
	;; [unrolled: 1-line block ×3, first 2 shown]
	v_add_f64 v[32:33], v[90:91], v[96:97]
	v_add_f64 v[12:13], v[8:9], v[90:91]
	v_fma_f64 v[8:9], -0.5, v[32:33], v[8:9]
	v_fma_f64 v[32:33], s[14:15], v[30:31], v[8:9]
	v_add_f64 v[34:35], v[92:93], -v[90:91]
	v_add_f64 v[36:37], v[94:95], -v[96:97]
	v_fmac_f64_e32 v[8:9], s[8:9], v[30:31]
	v_fmac_f64_e32 v[32:33], s[6:7], v[26:27]
	v_add_f64 v[34:35], v[34:35], v[36:37]
	v_fmac_f64_e32 v[8:9], s[16:17], v[26:27]
	v_add_f64 v[30:31], v[74:75], v[80:81]
	v_fmac_f64_e32 v[32:33], s[12:13], v[34:35]
	v_fmac_f64_e32 v[8:9], s[12:13], v[34:35]
	v_fma_f64 v[30:31], -0.5, v[30:31], v[10:11]
	v_add_f64 v[34:35], v[54:55], -v[62:63]
	v_mul_f64 v[22:23], v[38:39], v[112:113]
	v_fma_f64 v[36:37], s[8:9], v[34:35], v[30:31]
	v_add_f64 v[38:39], v[56:57], -v[60:61]
	v_add_f64 v[40:41], v[68:69], -v[74:75]
	;; [unrolled: 1-line block ×3, first 2 shown]
	v_fmac_f64_e32 v[30:31], s[14:15], v[34:35]
	v_fmac_f64_e32 v[36:37], s[6:7], v[38:39]
	v_add_f64 v[40:41], v[40:41], v[42:43]
	v_fmac_f64_e32 v[30:31], s[16:17], v[38:39]
	v_fmac_f64_e32 v[36:37], s[12:13], v[40:41]
	;; [unrolled: 1-line block ×3, first 2 shown]
	v_add_f64 v[40:41], v[68:69], v[84:85]
	v_add_f64 v[26:27], v[10:11], v[68:69]
	v_fmac_f64_e32 v[10:11], -0.5, v[40:41]
	v_fmac_f64_e32 v[22:23], v[134:135], v[110:111]
	v_mul_f64 v[20:21], v[20:21], v[118:119]
	v_fmac_f64_e32 v[64:65], v[102:103], v[124:125]
	v_fma_f64 v[40:41], s[14:15], v[38:39], v[10:11]
	v_add_f64 v[42:43], v[74:75], -v[68:69]
	v_add_f64 v[44:45], v[80:81], -v[84:85]
	v_fmac_f64_e32 v[10:11], s[8:9], v[38:39]
	v_add_f64 v[38:39], v[70:71], v[76:77]
	v_fmac_f64_e32 v[20:21], v[128:129], v[116:117]
	v_fmac_f64_e32 v[58:59], v[138:139], v[120:121]
	;; [unrolled: 1-line block ×3, first 2 shown]
	v_add_f64 v[42:43], v[42:43], v[44:45]
	v_fmac_f64_e32 v[10:11], s[16:17], v[34:35]
	v_fma_f64 v[110:111], -0.5, v[38:39], v[24:25]
	v_add_f64 v[38:39], v[22:23], -v[64:65]
	v_fmac_f64_e32 v[40:41], s[12:13], v[42:43]
	v_fmac_f64_e32 v[10:11], s[12:13], v[42:43]
	v_fma_f64 v[42:43], s[8:9], v[38:39], v[110:111]
	v_add_f64 v[44:45], v[20:21], -v[58:59]
	v_add_f64 v[46:47], v[66:67], -v[70:71]
	;; [unrolled: 1-line block ×3, first 2 shown]
	v_fmac_f64_e32 v[110:111], s[14:15], v[38:39]
	v_fmac_f64_e32 v[42:43], s[6:7], v[44:45]
	v_add_f64 v[46:47], v[46:47], v[48:49]
	v_fmac_f64_e32 v[110:111], s[16:17], v[44:45]
	v_fmac_f64_e32 v[42:43], s[12:13], v[46:47]
	;; [unrolled: 1-line block ×3, first 2 shown]
	v_add_f64 v[46:47], v[66:67], v[86:87]
	v_add_f64 v[34:35], v[24:25], v[66:67]
	v_fmac_f64_e32 v[24:25], -0.5, v[46:47]
	v_add_f64 v[12:13], v[12:13], v[92:93]
	v_fma_f64 v[46:47], s[14:15], v[44:45], v[24:25]
	v_fmac_f64_e32 v[24:25], s[8:9], v[44:45]
	v_add_f64 v[12:13], v[12:13], v[94:95]
	v_fmac_f64_e32 v[46:47], s[6:7], v[38:39]
	v_fmac_f64_e32 v[24:25], s[16:17], v[38:39]
	v_mul_u32_u24_e32 v38, 0x7f8, v140
	v_lshlrev_b32_sdwa v39, v115, v141 dst_sel:DWORD dst_unused:UNUSED_PAD src0_sel:DWORD src1_sel:BYTE_0
	v_add_f64 v[12:13], v[12:13], v[96:97]
	v_add3_u32 v98, 0, v38, v39
	v_add_f64 v[26:27], v[26:27], v[74:75]
	v_add_f64 v[34:35], v[34:35], v[70:71]
	v_add_f64 v[48:49], v[70:71], -v[66:67]
	v_add_f64 v[50:51], v[76:77], -v[86:87]
	ds_write2_b64 v98, v[12:13], v[28:29] offset1:51
	ds_write2_b64 v98, v[32:33], v[8:9] offset0:102 offset1:153
	ds_write_b64 v98, v[14:15] offset:1632
	v_mul_u32_u24_e32 v8, 0x7f8, v142
	v_lshlrev_b32_sdwa v9, v115, v143 dst_sel:DWORD dst_unused:UNUSED_PAD src0_sel:DWORD src1_sel:BYTE_0
	v_add_f64 v[26:27], v[26:27], v[80:81]
	v_add_f64 v[34:35], v[34:35], v[76:77]
	;; [unrolled: 1-line block ×3, first 2 shown]
	v_add3_u32 v99, 0, v8, v9
	v_mul_u32_u24_e32 v8, 0x7f8, v144
	v_lshlrev_b32_e32 v9, 3, v145
	v_add_f64 v[26:27], v[26:27], v[84:85]
	v_add_f64 v[34:35], v[34:35], v[86:87]
	v_fmac_f64_e32 v[46:47], s[12:13], v[48:49]
	v_fmac_f64_e32 v[24:25], s[12:13], v[48:49]
	v_add3_u32 v100, 0, v8, v9
	v_add_u32_e32 v101, 0x400, v107
	ds_write2_b64 v99, v[26:27], v[36:37] offset1:51
	ds_write2_b64 v99, v[40:41], v[10:11] offset0:102 offset1:153
	ds_write_b64 v99, v[30:31] offset:1632
	ds_write2_b64 v100, v[34:35], v[42:43] offset1:51
	ds_write2_b64 v100, v[46:47], v[24:25] offset0:102 offset1:153
	ds_write_b64 v100, v[110:111] offset:1632
	s_waitcnt lgkmcnt(0)
	s_barrier
	ds_read2_b64 v[24:27], v107 offset1:119
	ds_read2_b64 v[28:31], v101 offset0:127 offset1:246
	ds_read2_b64 v[36:39], v161 offset0:126 offset1:245
	;; [unrolled: 1-line block ×6, first 2 shown]
                                        ; implicit-def: $vgpr10_vgpr11
                                        ; implicit-def: $vgpr14_vgpr15
	s_and_saveexec_b64 s[18:19], s[0:1]
	s_cbranch_execz .LBB0_17
; %bb.16:
	v_add_u32_e32 v8, 0x1f58, v107
	v_add_u32_e32 v0, 0xf68, v107
	ds_read2_b64 v[12:15], v8 offset1:255
	v_add_u32_e32 v8, 0x2f48, v107
	ds_read_b64 v[110:111], v159
	ds_read2_b64 v[0:3], v0 offset1:255
	ds_read2_b64 v[8:11], v8 offset1:255
.LBB0_17:
	s_or_b64 exec, exec, s[18:19]
	v_add_f64 v[112:113], v[78:79], v[82:83]
	v_fma_f64 v[116:117], -0.5, v[112:113], v[16:17]
	v_add_f64 v[90:91], v[90:91], -v[96:97]
	v_fma_f64 v[96:97], s[14:15], v[90:91], v[116:117]
	v_add_f64 v[92:93], v[92:93], -v[94:95]
	v_add_f64 v[94:95], v[72:73], -v[78:79]
	;; [unrolled: 1-line block ×3, first 2 shown]
	v_fmac_f64_e32 v[116:117], s[8:9], v[90:91]
	v_add_f64 v[102:103], v[16:17], v[72:73]
	v_fmac_f64_e32 v[96:97], s[16:17], v[92:93]
	v_add_f64 v[94:95], v[94:95], v[112:113]
	;; [unrolled: 2-line block ×3, first 2 shown]
	v_fmac_f64_e32 v[96:97], s[12:13], v[94:95]
	v_fmac_f64_e32 v[116:117], s[12:13], v[94:95]
	v_add_f64 v[94:95], v[72:73], v[88:89]
	v_add_f64 v[72:73], v[78:79], -v[72:73]
	v_add_f64 v[78:79], v[82:83], -v[88:89]
	v_fma_f64 v[16:17], -0.5, v[94:95], v[16:17]
	v_add_f64 v[72:73], v[72:73], v[78:79]
	v_add_f64 v[78:79], v[56:57], v[60:61]
	v_fma_f64 v[94:95], s[8:9], v[92:93], v[16:17]
	v_fmac_f64_e32 v[16:17], s[14:15], v[92:93]
	v_fma_f64 v[78:79], -0.5, v[78:79], v[18:19]
	v_add_f64 v[68:69], v[68:69], -v[84:85]
	v_add_f64 v[102:103], v[102:103], v[82:83]
	v_fmac_f64_e32 v[94:95], s[16:17], v[90:91]
	v_fmac_f64_e32 v[16:17], s[6:7], v[90:91]
	v_fma_f64 v[82:83], s[14:15], v[68:69], v[78:79]
	v_add_f64 v[74:75], v[74:75], -v[80:81]
	v_add_f64 v[80:81], v[54:55], -v[56:57]
	;; [unrolled: 1-line block ×3, first 2 shown]
	v_fmac_f64_e32 v[78:79], s[8:9], v[68:69]
	v_fmac_f64_e32 v[94:95], s[12:13], v[72:73]
	;; [unrolled: 1-line block ×3, first 2 shown]
	v_add_f64 v[72:73], v[18:19], v[54:55]
	v_fmac_f64_e32 v[82:83], s[16:17], v[74:75]
	v_add_f64 v[80:81], v[80:81], v[84:85]
	v_fmac_f64_e32 v[78:79], s[6:7], v[74:75]
	;; [unrolled: 2-line block ×3, first 2 shown]
	v_fmac_f64_e32 v[78:79], s[12:13], v[80:81]
	v_add_f64 v[80:81], v[54:55], v[62:63]
	v_add_f64 v[54:55], v[56:57], -v[54:55]
	v_add_f64 v[56:57], v[60:61], -v[62:63]
	v_fmac_f64_e32 v[18:19], -0.5, v[80:81]
	v_add_f64 v[54:55], v[54:55], v[56:57]
	v_add_f64 v[56:57], v[20:21], v[58:59]
	;; [unrolled: 1-line block ×3, first 2 shown]
	v_fma_f64 v[80:81], s[8:9], v[74:75], v[18:19]
	v_fmac_f64_e32 v[18:19], s[14:15], v[74:75]
	v_fma_f64 v[112:113], -0.5, v[56:57], v[52:53]
	v_add_f64 v[56:57], v[66:67], -v[86:87]
	v_add_f64 v[72:73], v[72:73], v[62:63]
	v_fmac_f64_e32 v[80:81], s[16:17], v[68:69]
	v_fmac_f64_e32 v[18:19], s[6:7], v[68:69]
	v_fma_f64 v[60:61], s[14:15], v[56:57], v[112:113]
	v_add_f64 v[62:63], v[70:71], -v[76:77]
	v_add_f64 v[66:67], v[22:23], -v[20:21]
	;; [unrolled: 1-line block ×3, first 2 shown]
	v_fmac_f64_e32 v[112:113], s[8:9], v[56:57]
	v_fmac_f64_e32 v[60:61], s[16:17], v[62:63]
	v_add_f64 v[66:67], v[66:67], v[68:69]
	v_fmac_f64_e32 v[112:113], s[6:7], v[62:63]
	v_fmac_f64_e32 v[60:61], s[12:13], v[66:67]
	;; [unrolled: 1-line block ×3, first 2 shown]
	v_add_f64 v[66:67], v[22:23], v[64:65]
	v_fmac_f64_e32 v[80:81], s[12:13], v[54:55]
	v_fmac_f64_e32 v[18:19], s[12:13], v[54:55]
	v_add_f64 v[54:55], v[52:53], v[22:23]
	v_fmac_f64_e32 v[52:53], -0.5, v[66:67]
	v_add_f64 v[54:55], v[54:55], v[20:21]
	v_fma_f64 v[66:67], s[8:9], v[62:63], v[52:53]
	v_add_f64 v[20:21], v[20:21], -v[22:23]
	v_add_f64 v[22:23], v[58:59], -v[64:65]
	v_fmac_f64_e32 v[52:53], s[14:15], v[62:63]
	v_add_f64 v[102:103], v[102:103], v[88:89]
	v_add_f64 v[54:55], v[54:55], v[58:59]
	v_fmac_f64_e32 v[66:67], s[16:17], v[56:57]
	v_add_f64 v[20:21], v[20:21], v[22:23]
	v_fmac_f64_e32 v[52:53], s[6:7], v[56:57]
	v_add_f64 v[54:55], v[54:55], v[64:65]
	v_fmac_f64_e32 v[66:67], s[12:13], v[20:21]
	v_fmac_f64_e32 v[52:53], s[12:13], v[20:21]
	s_waitcnt lgkmcnt(0)
	s_barrier
	ds_write2_b64 v98, v[102:103], v[96:97] offset1:51
	ds_write2_b64 v98, v[94:95], v[16:17] offset0:102 offset1:153
	ds_write_b64 v98, v[116:117] offset:1632
	ds_write2_b64 v99, v[72:73], v[82:83] offset1:51
	ds_write2_b64 v99, v[80:81], v[18:19] offset0:102 offset1:153
	ds_write_b64 v99, v[78:79] offset:1632
	;; [unrolled: 3-line block ×3, first 2 shown]
	v_add_u32_e32 v16, 0xc00, v107
	s_waitcnt lgkmcnt(0)
	s_barrier
	ds_read2_b64 v[52:55], v107 offset1:119
	ds_read2_b64 v[56:59], v101 offset0:127 offset1:246
	ds_read2_b64 v[64:67], v16 offset0:126 offset1:245
	v_add_u32_e32 v16, 0x1400, v107
	ds_read2_b64 v[76:79], v16 offset0:125 offset1:244
	v_add_u32_e32 v16, 0x1c00, v107
	;; [unrolled: 2-line block ×4, first 2 shown]
	ds_read2_b64 v[60:63], v16 offset0:122 offset1:241
                                        ; implicit-def: $vgpr18_vgpr19
                                        ; implicit-def: $vgpr22_vgpr23
	s_and_saveexec_b64 s[6:7], s[0:1]
	s_cbranch_execz .LBB0_19
; %bb.18:
	v_add_u32_e32 v16, 0x1f58, v107
	v_add_u32_e32 v4, 0xf68, v107
	ds_read2_b64 v[20:23], v16 offset1:255
	v_add_u32_e32 v16, 0x2f48, v107
	ds_read_b64 v[112:113], v159
	ds_read2_b64 v[4:7], v4 offset1:255
	ds_read2_b64 v[16:19], v16 offset1:255
.LBB0_19:
	s_or_b64 exec, exec, s[6:7]
	s_and_saveexec_b64 s[6:7], vcc
	s_cbranch_execz .LBB0_22
; %bb.20:
	v_mul_u32_u24_e32 v80, 6, v114
	v_lshlrev_b32_e32 v107, 4, v80
	global_load_dwordx4 v[80:83], v107, s[4:5] offset:3856
	global_load_dwordx4 v[84:87], v107, s[4:5] offset:3840
	;; [unrolled: 1-line block ×6, first 2 shown]
	v_mul_lo_u32 v107, s3, v108
	v_mul_lo_u32 v115, s2, v109
	v_mad_u64_u32 v[108:109], s[2:3], s2, v108, 0
	v_mul_u32_u24_e32 v116, 6, v106
	v_add3_u32 v109, v109, v115, v107
	v_lshlrev_b32_e32 v107, 4, v116
	global_load_dwordx4 v[116:119], v107, s[4:5] offset:3856
	global_load_dwordx4 v[120:123], v107, s[4:5] offset:3840
	;; [unrolled: 1-line block ×6, first 2 shown]
	s_mov_b32 s16, 0x37e14327
	s_mov_b32 s12, 0x36b3c0b5
	;; [unrolled: 1-line block ×20, first 2 shown]
	v_mov_b32_e32 v107, 0
	s_movk_i32 s26, 0x2000
	s_movk_i32 s27, 0x3000
	;; [unrolled: 1-line block ×3, first 2 shown]
	s_waitcnt vmcnt(11) lgkmcnt(2)
	v_mul_f64 v[140:141], v[74:75], v[82:83]
	s_waitcnt vmcnt(10)
	v_mul_f64 v[142:143], v[78:79], v[86:87]
	s_waitcnt vmcnt(9)
	v_mul_f64 v[144:145], v[66:67], v[90:91]
	s_waitcnt vmcnt(8) lgkmcnt(1)
	v_mul_f64 v[146:147], v[70:71], v[102:103]
	s_waitcnt vmcnt(7)
	v_mul_f64 v[148:149], v[58:59], v[94:95]
	s_waitcnt vmcnt(6) lgkmcnt(0)
	v_mul_f64 v[150:151], v[62:63], v[98:99]
	v_mul_f64 v[90:91], v[38:39], v[90:91]
	;; [unrolled: 1-line block ×7, first 2 shown]
	v_fma_f64 v[46:47], v[46:47], v[80:81], -v[140:141]
	v_fma_f64 v[50:51], v[50:51], v[84:85], -v[142:143]
	;; [unrolled: 1-line block ×6, first 2 shown]
	v_fmac_f64_e32 v[90:91], v[66:67], v[88:89]
	v_fmac_f64_e32 v[102:103], v[70:71], v[100:101]
	;; [unrolled: 1-line block ×6, first 2 shown]
	v_add_f64 v[58:59], v[46:47], -v[50:51]
	v_add_f64 v[62:63], v[38:39], -v[42:43]
	;; [unrolled: 1-line block ×3, first 2 shown]
	v_add_f64 v[74:75], v[90:91], v[102:103]
	v_add_f64 v[84:85], v[94:95], v[98:99]
	;; [unrolled: 1-line block ×7, first 2 shown]
	v_add_f64 v[88:89], v[30:31], -v[46:47]
	v_add_f64 v[92:93], v[38:39], v[30:31]
	v_add_f64 v[34:35], v[58:59], v[62:63]
	v_add_f64 v[42:43], v[58:59], -v[62:63]
	v_add_f64 v[50:51], v[66:67], -v[58:59]
	v_add_f64 v[58:59], v[70:71], -v[74:75]
	v_add_f64 v[78:79], v[84:85], -v[70:71]
	v_add_f64 v[86:87], v[46:47], -v[38:39]
	v_add_f64 v[70:71], v[70:71], v[80:81]
	v_mul_f64 v[142:143], v[88:89], s[16:17]
	v_add_f64 v[46:47], v[46:47], v[92:93]
	v_mul_f64 v[140:141], v[86:87], s[12:13]
	v_add_f64 v[88:89], v[54:55], v[70:71]
	v_fma_f64 v[54:55], s[12:13], v[86:87], v[142:143]
	v_add_f64 v[86:87], v[26:27], v[46:47]
	v_mov_b64_e32 v[26:27], v[86:87]
	v_mov_b64_e32 v[92:93], v[88:89]
	v_fmac_f64_e32 v[26:27], s[14:15], v[46:47]
	v_fmac_f64_e32 v[92:93], s[14:15], v[70:71]
	v_add_f64 v[46:47], v[54:55], v[26:27]
	v_add_f64 v[54:55], v[82:83], -v[152:153]
	v_add_f64 v[70:71], v[90:91], -v[102:103]
	v_mul_f64 v[100:101], v[78:79], s[16:17]
	v_add_f64 v[78:79], v[54:55], v[70:71]
	v_add_f64 v[82:83], v[94:95], -v[98:99]
	v_add_f64 v[62:63], v[62:63], -v[66:67]
	v_add_f64 v[34:35], v[34:35], v[66:67]
	v_mul_f64 v[42:43], v[42:43], s[8:9]
	v_add_f64 v[90:91], v[78:79], v[82:83]
	v_add_f64 v[78:79], v[54:55], -v[70:71]
	v_mul_f64 v[66:67], v[62:63], s[20:21]
	v_add_f64 v[70:71], v[70:71], -v[82:83]
	v_mul_f64 v[96:97], v[58:59], s[12:13]
	v_fma_f64 v[144:145], s[6:7], v[50:51], v[42:43]
	v_mul_f64 v[94:95], v[78:79], s[8:9]
	v_add_f64 v[54:55], v[82:83], -v[54:55]
	v_fma_f64 v[50:51], v[50:51], s[18:19], -v[66:67]
	v_add_f64 v[66:67], v[74:75], -v[84:85]
	v_add_f64 v[30:31], v[38:39], -v[30:31]
	v_mul_f64 v[82:83], v[70:71], s[20:21]
	v_fma_f64 v[42:43], v[62:63], s[20:21], -v[42:43]
	v_fma_f64 v[58:59], s[12:13], v[58:59], v[100:101]
	v_fmac_f64_e32 v[144:145], s[2:3], v[34:35]
	v_fma_f64 v[102:103], s[6:7], v[54:55], v[94:95]
	v_fmac_f64_e32 v[50:51], s[2:3], v[34:35]
	v_fma_f64 v[74:75], v[66:67], s[22:23], -v[100:101]
	v_fma_f64 v[38:39], v[30:31], s[22:23], -v[142:143]
	v_fma_f64 v[54:55], v[54:55], s[18:19], -v[82:83]
	v_fma_f64 v[66:67], v[66:67], s[24:25], -v[96:97]
	v_fmac_f64_e32 v[42:43], s[2:3], v[34:35]
	v_fma_f64 v[34:35], v[70:71], s[20:21], -v[94:95]
	v_fma_f64 v[30:31], v[30:31], s[24:25], -v[140:141]
	v_add_f64 v[58:59], v[58:59], v[92:93]
	v_add_f64 v[38:39], v[38:39], v[26:27]
	v_fmac_f64_e32 v[54:55], s[2:3], v[90:91]
	v_add_f64 v[66:67], v[66:67], v[92:93]
	v_fmac_f64_e32 v[34:35], s[2:3], v[90:91]
	v_add_f64 v[26:27], v[30:31], v[26:27]
	v_add_f64 v[80:81], v[144:145], v[58:59]
	v_fmac_f64_e32 v[102:103], s[2:3], v[90:91]
	v_add_f64 v[74:75], v[74:75], v[92:93]
	v_add_f64 v[82:83], v[38:39], -v[54:55]
	v_add_f64 v[92:93], v[66:67], -v[42:43]
	v_add_f64 v[90:91], v[34:35], v[26:27]
	v_add_f64 v[96:97], v[42:43], v[66:67]
	v_add_f64 v[94:95], v[26:27], -v[34:35]
	v_add_f64 v[98:99], v[54:55], v[38:39]
	v_add_f64 v[142:143], v[58:59], -v[144:145]
	s_waitcnt vmcnt(5)
	v_mul_f64 v[26:27], v[72:73], v[118:119]
	s_waitcnt vmcnt(4)
	v_mul_f64 v[30:31], v[76:77], v[122:123]
	s_waitcnt vmcnt(3)
	v_mul_f64 v[38:39], v[64:65], v[126:127]
	s_waitcnt vmcnt(0)
	v_mul_f64 v[42:43], v[68:69], v[138:139]
	v_mul_f64 v[54:55], v[56:57], v[130:131]
	v_mul_f64 v[58:59], v[60:61], v[134:135]
	v_fma_f64 v[26:27], v[44:45], v[116:117], -v[26:27]
	v_fma_f64 v[30:31], v[48:49], v[120:121], -v[30:31]
	;; [unrolled: 1-line block ×6, first 2 shown]
	v_add_f64 v[78:79], v[46:47], -v[102:103]
	v_add_f64 v[140:141], v[102:103], v[46:47]
	v_add_f64 v[34:35], v[26:27], -v[30:31]
	v_add_f64 v[46:47], v[38:39], -v[42:43]
	;; [unrolled: 1-line block ×3, first 2 shown]
	v_add_f64 v[84:85], v[50:51], v[74:75]
	v_add_f64 v[100:101], v[74:75], -v[50:51]
	v_add_f64 v[50:51], v[34:35], v[46:47]
	v_add_f64 v[66:67], v[34:35], -v[46:47]
	v_add_f64 v[70:71], v[62:63], -v[34:35]
	v_mul_f64 v[34:35], v[48:49], v[122:123]
	v_fmac_f64_e32 v[34:35], v[76:77], v[120:121]
	v_mul_f64 v[44:45], v[44:45], v[118:119]
	v_mul_f64 v[76:77], v[28:29], v[130:131]
	;; [unrolled: 1-line block ×3, first 2 shown]
	v_fmac_f64_e32 v[44:45], v[72:73], v[116:117]
	v_mul_f64 v[72:73], v[36:37], v[126:127]
	v_mul_f64 v[40:41], v[40:41], v[138:139]
	v_fmac_f64_e32 v[76:77], v[56:57], v[128:129]
	v_fmac_f64_e32 v[32:33], v[60:61], v[132:133]
	v_add_f64 v[48:49], v[44:45], v[34:35]
	v_fmac_f64_e32 v[72:73], v[64:65], v[124:125]
	v_fmac_f64_e32 v[40:41], v[68:69], v[136:137]
	v_add_f64 v[56:57], v[76:77], v[32:33]
	v_add_f64 v[64:65], v[72:73], v[40:41]
	v_add_f64 v[28:29], v[56:57], -v[48:49]
	v_mul_f64 v[60:61], v[28:29], s[16:17]
	v_add_f64 v[28:29], v[64:65], v[56:57]
	v_add_f64 v[36:37], v[48:49], -v[64:65]
	v_add_f64 v[48:49], v[48:49], v[28:29]
	v_add_f64 v[28:29], v[52:53], v[48:49]
	v_mov_b64_e32 v[52:53], v[28:29]
	v_fmac_f64_e32 v[52:53], s[14:15], v[48:49]
	v_add_f64 v[26:27], v[26:27], v[30:31]
	v_add_f64 v[30:31], v[38:39], v[42:43]
	;; [unrolled: 1-line block ×5, first 2 shown]
	v_add_f64 v[38:39], v[26:27], -v[30:31]
	v_add_f64 v[54:55], v[48:49], -v[26:27]
	v_add_f64 v[26:27], v[24:25], v[58:59]
	v_mul_f64 v[54:55], v[54:55], s[16:17]
	v_mov_b64_e32 v[24:25], v[26:27]
	v_mul_f64 v[42:43], v[38:39], s[12:13]
	v_fma_f64 v[38:39], s[12:13], v[38:39], v[54:55]
	v_fmac_f64_e32 v[24:25], s[14:15], v[58:59]
	v_add_f64 v[58:59], v[38:39], v[24:25]
	v_add_f64 v[34:35], v[44:45], -v[34:35]
	v_add_f64 v[38:39], v[72:73], -v[40:41]
	v_add_f64 v[40:41], v[34:35], v[38:39]
	v_add_f64 v[32:33], v[76:77], -v[32:33]
	v_add_f64 v[72:73], v[40:41], v[32:33]
	v_add_f64 v[40:41], v[34:35], -v[38:39]
	v_add_f64 v[46:47], v[46:47], -v[62:63]
	v_mul_f64 v[66:67], v[66:67], s[8:9]
	v_mul_f64 v[76:77], v[40:41], s[8:9]
	;; [unrolled: 1-line block ×3, first 2 shown]
	v_add_f64 v[50:51], v[50:51], v[62:63]
	v_fma_f64 v[74:75], s[6:7], v[70:71], v[66:67]
	v_add_f64 v[44:45], v[32:33], -v[34:35]
	v_fma_f64 v[62:63], v[70:71], s[18:19], -v[40:41]
	v_add_f64 v[30:31], v[30:31], -v[48:49]
	v_add_f64 v[32:33], v[38:39], -v[32:33]
	v_fma_f64 v[46:47], v[46:47], s[20:21], -v[66:67]
	v_fmac_f64_e32 v[74:75], s[2:3], v[50:51]
	v_fmac_f64_e32 v[62:63], s[2:3], v[50:51]
	v_fma_f64 v[48:49], v[30:31], s[22:23], -v[54:55]
	v_fmac_f64_e32 v[46:47], s[2:3], v[50:51]
	v_fma_f64 v[50:51], v[32:33], s[20:21], -v[76:77]
	v_fma_f64 v[30:31], v[30:31], s[24:25], -v[42:43]
	v_add_f64 v[54:55], v[48:49], v[24:25]
	v_fmac_f64_e32 v[50:51], s[2:3], v[72:73]
	v_add_f64 v[24:25], v[30:31], v[24:25]
	v_add_f64 v[42:43], v[50:51], v[24:25]
	v_add_f64 v[30:31], v[24:25], -v[50:51]
	v_lshl_add_u64 v[24:25], v[108:109], 4, s[10:11]
	v_mul_f64 v[68:69], v[36:37], s[12:13]
	v_fma_f64 v[36:37], s[12:13], v[36:37], v[60:61]
	v_fma_f64 v[116:117], s[6:7], v[44:45], v[76:77]
	v_add_f64 v[56:57], v[64:65], -v[56:57]
	v_mul_f64 v[38:39], v[32:33], s[20:21]
	v_lshl_add_u64 v[24:25], v[104:105], 4, v[24:25]
	v_add_f64 v[102:103], v[36:37], v[52:53]
	v_fmac_f64_e32 v[116:117], s[2:3], v[72:73]
	v_fma_f64 v[40:41], v[56:57], s[22:23], -v[60:61]
	v_fma_f64 v[64:65], v[44:45], s[18:19], -v[38:39]
	;; [unrolled: 1-line block ×3, first 2 shown]
	v_lshl_add_u64 v[24:25], v[106:107], 4, v[24:25]
	s_movk_i32 s10, 0x1000
	v_add_f64 v[60:61], v[40:41], v[52:53]
	v_add_f64 v[48:49], v[44:45], v[52:53]
	v_add_f64 v[52:53], v[102:103], -v[74:75]
	v_add_f64 v[50:51], v[116:117], v[58:59]
	global_store_dwordx4 v[24:25], v[26:29], off
	global_store_dwordx4 v[24:25], v[50:53], off offset:4080
	v_add_f64 v[32:33], v[46:47], v[48:49]
	v_add_co_u32_e32 v26, vcc, s10, v24
	v_fmac_f64_e32 v[64:65], s[2:3], v[72:73]
	s_nop 0
	v_addc_co_u32_e32 v27, vcc, 0, v25, vcc
	v_add_co_u32_e32 v28, vcc, s26, v24
	v_add_f64 v[40:41], v[62:63], v[60:61]
	s_nop 0
	v_addc_co_u32_e32 v29, vcc, 0, v25, vcc
	global_store_dwordx4 v[28:29], v[30:33], off offset:4048
	v_add_f64 v[38:39], v[54:55], -v[64:65]
	s_movk_i32 s10, 0x5000
	v_add_co_u32_e32 v30, vcc, s27, v24
	v_add_f64 v[36:37], v[74:75], v[102:103]
	s_nop 0
	v_addc_co_u32_e32 v31, vcc, 0, v25, vcc
	v_add_co_u32_e32 v32, vcc, s28, v24
	v_add_f64 v[34:35], v[58:59], -v[116:117]
	s_nop 0
	v_addc_co_u32_e32 v33, vcc, 0, v25, vcc
	global_store_dwordx4 v[32:33], v[38:41], off offset:4016
	v_add_f64 v[44:45], v[48:49], -v[46:47]
	v_add_f64 v[48:49], v[60:61], -v[62:63]
	v_add_co_u32_e32 v38, vcc, s10, v24
	s_mov_b32 s10, 0x80808081
	s_nop 0
	v_addc_co_u32_e32 v39, vcc, 0, v25, vcc
	global_store_dwordx4 v[38:39], v[34:37], off offset:4000
	v_add_f64 v[46:47], v[64:65], v[54:55]
	global_store_dwordx4 v[26:27], v[46:49], off offset:4064
	v_mul_hi_u32 v34, v114, s10
	v_lshrrev_b32_e32 v34, 7, v34
	v_mul_u32_u24_e32 v34, 0x5fa, v34
	v_mov_b32_e32 v35, v107
	v_lshl_add_u64 v[34:35], v[34:35], 4, v[24:25]
	s_mov_b64 s[10:11], 0x770
	v_lshl_add_u64 v[36:37], v[34:35], 0, s[10:11]
	global_store_dwordx4 v[30:31], v[42:45], off offset:4032
	global_store_dwordx4 v[34:35], v[86:89], off offset:1904
	;; [unrolled: 1-line block ×3, first 2 shown]
	v_add_co_u32_e32 v36, vcc, s26, v34
	s_nop 1
	v_addc_co_u32_e32 v37, vcc, 0, v35, vcc
	global_store_dwordx4 v[36:37], v[98:101], off offset:1872
	v_add_co_u32_e32 v36, vcc, s27, v34
	s_nop 1
	v_addc_co_u32_e32 v37, vcc, 0, v35, vcc
	global_store_dwordx4 v[36:37], v[94:97], off offset:1856
	;; [unrolled: 4-line block ×3, first 2 shown]
	v_add_co_u32_e32 v36, vcc, 0x5000, v34
	s_nop 1
	v_addc_co_u32_e32 v37, vcc, 0, v35, vcc
	v_add_co_u32_e32 v34, vcc, 0x6000, v34
	global_store_dwordx4 v[36:37], v[82:85], off offset:1824
	s_nop 0
	v_addc_co_u32_e32 v35, vcc, 0, v35, vcc
	global_store_dwordx4 v[34:35], v[78:81], off offset:1808
	s_and_b64 exec, exec, s[0:1]
	s_cbranch_execz .LBB0_22
; %bb.21:
	v_subrev_u32_e32 v34, 17, v106
	v_cndmask_b32_e64 v34, v34, v158, s[0:1]
	v_mul_i32_i24_e32 v106, 6, v34
	v_lshl_add_u64 v[58:59], v[106:107], 4, s[4:5]
	global_load_dwordx4 v[34:37], v[58:59], off offset:3808
	global_load_dwordx4 v[38:41], v[58:59], off offset:3824
	;; [unrolled: 1-line block ×6, first 2 shown]
	s_waitcnt vmcnt(5)
	v_mul_f64 v[58:59], v[4:5], v[36:37]
	v_mul_f64 v[36:37], v[0:1], v[36:37]
	s_waitcnt vmcnt(4)
	v_mul_f64 v[60:61], v[6:7], v[40:41]
	v_mul_f64 v[40:41], v[2:3], v[40:41]
	;; [unrolled: 3-line block ×4, first 2 shown]
	v_mul_f64 v[62:63], v[20:21], v[44:45]
	v_mul_f64 v[44:45], v[12:13], v[44:45]
	;; [unrolled: 1-line block ×4, first 2 shown]
	v_fma_f64 v[0:1], v[0:1], v[34:35], -v[58:59]
	v_fmac_f64_e32 v[36:37], v[4:5], v[34:35]
	v_fma_f64 v[2:3], v[2:3], v[38:39], -v[60:61]
	v_fmac_f64_e32 v[40:41], v[6:7], v[38:39]
	;; [unrolled: 2-line block ×6, first 2 shown]
	v_add_f64 v[12:13], v[0:1], v[10:11]
	v_add_f64 v[14:15], v[36:37], v[56:57]
	;; [unrolled: 1-line block ×4, first 2 shown]
	v_add_f64 v[0:1], v[0:1], -v[10:11]
	v_add_f64 v[10:11], v[36:37], -v[56:57]
	;; [unrolled: 1-line block ×4, first 2 shown]
	v_add_f64 v[20:21], v[4:5], v[6:7]
	v_add_f64 v[22:23], v[44:45], v[48:49]
	v_add_f64 v[4:5], v[6:7], -v[4:5]
	v_add_f64 v[6:7], v[48:49], -v[44:45]
	v_add_f64 v[34:35], v[16:17], v[12:13]
	v_add_f64 v[36:37], v[18:19], v[14:15]
	v_add_f64 v[38:39], v[16:17], -v[12:13]
	v_add_f64 v[40:41], v[18:19], -v[14:15]
	;; [unrolled: 1-line block ×6, first 2 shown]
	v_add_f64 v[42:43], v[4:5], v[2:3]
	v_add_f64 v[44:45], v[6:7], v[8:9]
	v_add_f64 v[46:47], v[4:5], -v[2:3]
	v_add_f64 v[48:49], v[6:7], -v[8:9]
	v_add_f64 v[50:51], v[2:3], -v[0:1]
	v_add_f64 v[8:9], v[8:9], -v[10:11]
	v_add_f64 v[20:21], v[20:21], v[34:35]
	v_add_f64 v[22:23], v[22:23], v[36:37]
	v_add_f64 v[4:5], v[0:1], -v[4:5]
	v_add_f64 v[6:7], v[10:11], -v[6:7]
	v_add_f64 v[34:35], v[42:43], v[0:1]
	v_add_f64 v[10:11], v[44:45], v[10:11]
	v_mul_f64 v[12:13], v[12:13], s[16:17]
	v_mul_f64 v[14:15], v[14:15], s[16:17]
	;; [unrolled: 1-line block ×8, first 2 shown]
	v_add_f64 v[0:1], v[110:111], v[20:21]
	v_add_f64 v[2:3], v[112:113], v[22:23]
	v_fma_f64 v[16:17], s[12:13], v[16:17], v[12:13]
	v_fma_f64 v[36:37], v[38:39], s[24:25], -v[36:37]
	v_fma_f64 v[42:43], v[40:41], s[24:25], -v[42:43]
	;; [unrolled: 1-line block ×4, first 2 shown]
	v_fmac_f64_e32 v[14:15], s[12:13], v[18:19]
	v_fma_f64 v[40:41], s[6:7], v[4:5], v[44:45]
	v_fma_f64 v[18:19], v[50:51], s[20:21], -v[44:45]
	v_fma_f64 v[44:45], v[8:9], s[20:21], -v[46:47]
	v_fmac_f64_e32 v[46:47], s[6:7], v[6:7]
	v_fma_f64 v[48:49], v[4:5], s[18:19], -v[48:49]
	v_fma_f64 v[50:51], v[6:7], s[18:19], -v[52:53]
	v_mov_b64_e32 v[4:5], v[0:1]
	v_mov_b64_e32 v[6:7], v[2:3]
	v_fmac_f64_e32 v[4:5], s[14:15], v[20:21]
	v_fmac_f64_e32 v[6:7], s[14:15], v[22:23]
	v_add_f64 v[52:53], v[16:17], v[4:5]
	v_add_f64 v[54:55], v[14:15], v[6:7]
	;; [unrolled: 1-line block ×6, first 2 shown]
	v_fmac_f64_e32 v[40:41], s[2:3], v[34:35]
	v_fmac_f64_e32 v[46:47], s[2:3], v[10:11]
	v_fmac_f64_e32 v[18:19], s[2:3], v[34:35]
	v_fmac_f64_e32 v[44:45], s[2:3], v[10:11]
	v_fmac_f64_e32 v[48:49], s[2:3], v[34:35]
	v_fmac_f64_e32 v[50:51], s[2:3], v[10:11]
	v_add_f64 v[4:5], v[46:47], v[52:53]
	v_add_f64 v[6:7], v[54:55], -v[40:41]
	v_add_f64 v[8:9], v[50:51], v[22:23]
	v_add_f64 v[10:11], v[36:37], -v[48:49]
	v_add_f64 v[12:13], v[16:17], -v[44:45]
	v_add_f64 v[14:15], v[18:19], v[20:21]
	v_add_f64 v[16:17], v[44:45], v[16:17]
	v_add_f64 v[18:19], v[20:21], -v[18:19]
	global_store_dwordx4 v[24:25], v[0:3], off offset:3808
	global_store_dwordx4 v[26:27], v[4:7], off offset:3792
	;; [unrolled: 1-line block ×5, first 2 shown]
	v_add_co_u32_e32 v0, vcc, 0x5000, v24
	v_add_f64 v[20:21], v[22:23], -v[50:51]
	v_add_f64 v[22:23], v[48:49], v[36:37]
	v_addc_co_u32_e32 v1, vcc, 0, v25, vcc
	global_store_dwordx4 v[0:1], v[20:23], off offset:3728
	v_add_co_u32_e32 v0, vcc, 0x6000, v24
	v_add_f64 v[34:35], v[52:53], -v[46:47]
	v_add_f64 v[36:37], v[40:41], v[54:55]
	v_addc_co_u32_e32 v1, vcc, 0, v25, vcc
	global_store_dwordx4 v[0:1], v[34:37], off offset:3712
.LBB0_22:
	s_endpgm
	.section	.rodata,"a",@progbits
	.p2align	6, 0x0
	.amdhsa_kernel fft_rtc_fwd_len1785_factors_17_3_5_7_wgs_119_tpt_119_halfLds_dp_op_CI_CI_unitstride_sbrr_dirReg
		.amdhsa_group_segment_fixed_size 0
		.amdhsa_private_segment_fixed_size 0
		.amdhsa_kernarg_size 104
		.amdhsa_user_sgpr_count 2
		.amdhsa_user_sgpr_dispatch_ptr 0
		.amdhsa_user_sgpr_queue_ptr 0
		.amdhsa_user_sgpr_kernarg_segment_ptr 1
		.amdhsa_user_sgpr_dispatch_id 0
		.amdhsa_user_sgpr_kernarg_preload_length 0
		.amdhsa_user_sgpr_kernarg_preload_offset 0
		.amdhsa_user_sgpr_private_segment_size 0
		.amdhsa_uses_dynamic_stack 0
		.amdhsa_enable_private_segment 0
		.amdhsa_system_sgpr_workgroup_id_x 1
		.amdhsa_system_sgpr_workgroup_id_y 0
		.amdhsa_system_sgpr_workgroup_id_z 0
		.amdhsa_system_sgpr_workgroup_info 0
		.amdhsa_system_vgpr_workitem_id 0
		.amdhsa_next_free_vgpr 184
		.amdhsa_next_free_sgpr 58
		.amdhsa_accum_offset 184
		.amdhsa_reserve_vcc 1
		.amdhsa_float_round_mode_32 0
		.amdhsa_float_round_mode_16_64 0
		.amdhsa_float_denorm_mode_32 3
		.amdhsa_float_denorm_mode_16_64 3
		.amdhsa_dx10_clamp 1
		.amdhsa_ieee_mode 1
		.amdhsa_fp16_overflow 0
		.amdhsa_tg_split 0
		.amdhsa_exception_fp_ieee_invalid_op 0
		.amdhsa_exception_fp_denorm_src 0
		.amdhsa_exception_fp_ieee_div_zero 0
		.amdhsa_exception_fp_ieee_overflow 0
		.amdhsa_exception_fp_ieee_underflow 0
		.amdhsa_exception_fp_ieee_inexact 0
		.amdhsa_exception_int_div_zero 0
	.end_amdhsa_kernel
	.text
.Lfunc_end0:
	.size	fft_rtc_fwd_len1785_factors_17_3_5_7_wgs_119_tpt_119_halfLds_dp_op_CI_CI_unitstride_sbrr_dirReg, .Lfunc_end0-fft_rtc_fwd_len1785_factors_17_3_5_7_wgs_119_tpt_119_halfLds_dp_op_CI_CI_unitstride_sbrr_dirReg
                                        ; -- End function
	.section	.AMDGPU.csdata,"",@progbits
; Kernel info:
; codeLenInByte = 15648
; NumSgprs: 64
; NumVgprs: 184
; NumAgprs: 0
; TotalNumVgprs: 184
; ScratchSize: 0
; MemoryBound: 1
; FloatMode: 240
; IeeeMode: 1
; LDSByteSize: 0 bytes/workgroup (compile time only)
; SGPRBlocks: 7
; VGPRBlocks: 22
; NumSGPRsForWavesPerEU: 64
; NumVGPRsForWavesPerEU: 184
; AccumOffset: 184
; Occupancy: 2
; WaveLimiterHint : 1
; COMPUTE_PGM_RSRC2:SCRATCH_EN: 0
; COMPUTE_PGM_RSRC2:USER_SGPR: 2
; COMPUTE_PGM_RSRC2:TRAP_HANDLER: 0
; COMPUTE_PGM_RSRC2:TGID_X_EN: 1
; COMPUTE_PGM_RSRC2:TGID_Y_EN: 0
; COMPUTE_PGM_RSRC2:TGID_Z_EN: 0
; COMPUTE_PGM_RSRC2:TIDIG_COMP_CNT: 0
; COMPUTE_PGM_RSRC3_GFX90A:ACCUM_OFFSET: 45
; COMPUTE_PGM_RSRC3_GFX90A:TG_SPLIT: 0
	.text
	.p2alignl 6, 3212836864
	.fill 256, 4, 3212836864
	.type	__hip_cuid_fddc6af18e083c63,@object ; @__hip_cuid_fddc6af18e083c63
	.section	.bss,"aw",@nobits
	.globl	__hip_cuid_fddc6af18e083c63
__hip_cuid_fddc6af18e083c63:
	.byte	0                               ; 0x0
	.size	__hip_cuid_fddc6af18e083c63, 1

	.ident	"AMD clang version 19.0.0git (https://github.com/RadeonOpenCompute/llvm-project roc-6.4.0 25133 c7fe45cf4b819c5991fe208aaa96edf142730f1d)"
	.section	".note.GNU-stack","",@progbits
	.addrsig
	.addrsig_sym __hip_cuid_fddc6af18e083c63
	.amdgpu_metadata
---
amdhsa.kernels:
  - .agpr_count:     0
    .args:
      - .actual_access:  read_only
        .address_space:  global
        .offset:         0
        .size:           8
        .value_kind:     global_buffer
      - .offset:         8
        .size:           8
        .value_kind:     by_value
      - .actual_access:  read_only
        .address_space:  global
        .offset:         16
        .size:           8
        .value_kind:     global_buffer
      - .actual_access:  read_only
        .address_space:  global
        .offset:         24
        .size:           8
        .value_kind:     global_buffer
      - .actual_access:  read_only
        .address_space:  global
        .offset:         32
        .size:           8
        .value_kind:     global_buffer
      - .offset:         40
        .size:           8
        .value_kind:     by_value
      - .actual_access:  read_only
        .address_space:  global
        .offset:         48
        .size:           8
        .value_kind:     global_buffer
      - .actual_access:  read_only
        .address_space:  global
        .offset:         56
        .size:           8
        .value_kind:     global_buffer
      - .offset:         64
        .size:           4
        .value_kind:     by_value
      - .actual_access:  read_only
        .address_space:  global
        .offset:         72
        .size:           8
        .value_kind:     global_buffer
      - .actual_access:  read_only
        .address_space:  global
        .offset:         80
        .size:           8
        .value_kind:     global_buffer
      - .actual_access:  read_only
        .address_space:  global
        .offset:         88
        .size:           8
        .value_kind:     global_buffer
      - .actual_access:  write_only
        .address_space:  global
        .offset:         96
        .size:           8
        .value_kind:     global_buffer
    .group_segment_fixed_size: 0
    .kernarg_segment_align: 8
    .kernarg_segment_size: 104
    .language:       OpenCL C
    .language_version:
      - 2
      - 0
    .max_flat_workgroup_size: 119
    .name:           fft_rtc_fwd_len1785_factors_17_3_5_7_wgs_119_tpt_119_halfLds_dp_op_CI_CI_unitstride_sbrr_dirReg
    .private_segment_fixed_size: 0
    .sgpr_count:     64
    .sgpr_spill_count: 0
    .symbol:         fft_rtc_fwd_len1785_factors_17_3_5_7_wgs_119_tpt_119_halfLds_dp_op_CI_CI_unitstride_sbrr_dirReg.kd
    .uniform_work_group_size: 1
    .uses_dynamic_stack: false
    .vgpr_count:     184
    .vgpr_spill_count: 0
    .wavefront_size: 64
amdhsa.target:   amdgcn-amd-amdhsa--gfx950
amdhsa.version:
  - 1
  - 2
...

	.end_amdgpu_metadata
